;; amdgpu-corpus repo=ROCm/rocFFT kind=compiled arch=gfx950 opt=O3
	.text
	.amdgcn_target "amdgcn-amd-amdhsa--gfx950"
	.amdhsa_code_object_version 6
	.protected	fft_rtc_back_len1820_factors_10_13_7_2_wgs_182_tpt_182_halfLds_sp_ip_CI_unitstride_sbrr_dirReg ; -- Begin function fft_rtc_back_len1820_factors_10_13_7_2_wgs_182_tpt_182_halfLds_sp_ip_CI_unitstride_sbrr_dirReg
	.globl	fft_rtc_back_len1820_factors_10_13_7_2_wgs_182_tpt_182_halfLds_sp_ip_CI_unitstride_sbrr_dirReg
	.p2align	8
	.type	fft_rtc_back_len1820_factors_10_13_7_2_wgs_182_tpt_182_halfLds_sp_ip_CI_unitstride_sbrr_dirReg,@function
fft_rtc_back_len1820_factors_10_13_7_2_wgs_182_tpt_182_halfLds_sp_ip_CI_unitstride_sbrr_dirReg: ; @fft_rtc_back_len1820_factors_10_13_7_2_wgs_182_tpt_182_halfLds_sp_ip_CI_unitstride_sbrr_dirReg
; %bb.0:
	s_load_dwordx2 s[8:9], s[0:1], 0x50
	s_load_dwordx4 s[4:7], s[0:1], 0x0
	s_load_dwordx2 s[10:11], s[0:1], 0x18
	v_mul_u32_u24_e32 v1, 0x169, v0
	v_add_u32_sdwa v6, s2, v1 dst_sel:DWORD dst_unused:UNUSED_PAD src0_sel:DWORD src1_sel:WORD_1
	v_mov_b32_e32 v4, 0
	s_waitcnt lgkmcnt(0)
	v_cmp_lt_u64_e64 s[2:3], s[6:7], 2
	v_mov_b32_e32 v7, v4
	s_and_b64 vcc, exec, s[2:3]
	v_mov_b64_e32 v[2:3], 0
	s_cbranch_vccnz .LBB0_8
; %bb.1:
	s_load_dwordx2 s[2:3], s[0:1], 0x10
	s_add_u32 s12, s10, 8
	s_addc_u32 s13, s11, 0
	s_mov_b64 s[14:15], 1
	v_mov_b64_e32 v[2:3], 0
	s_waitcnt lgkmcnt(0)
	s_add_u32 s16, s2, 8
	s_addc_u32 s17, s3, 0
.LBB0_2:                                ; =>This Inner Loop Header: Depth=1
	s_load_dwordx2 s[18:19], s[16:17], 0x0
                                        ; implicit-def: $vgpr8_vgpr9
	s_waitcnt lgkmcnt(0)
	v_or_b32_e32 v5, s19, v7
	v_cmp_ne_u64_e32 vcc, 0, v[4:5]
	s_and_saveexec_b64 s[2:3], vcc
	s_xor_b64 s[20:21], exec, s[2:3]
	s_cbranch_execz .LBB0_4
; %bb.3:                                ;   in Loop: Header=BB0_2 Depth=1
	v_cvt_f32_u32_e32 v1, s18
	v_cvt_f32_u32_e32 v5, s19
	s_sub_u32 s2, 0, s18
	s_subb_u32 s3, 0, s19
	v_fmac_f32_e32 v1, 0x4f800000, v5
	v_rcp_f32_e32 v1, v1
	s_nop 0
	v_mul_f32_e32 v1, 0x5f7ffffc, v1
	v_mul_f32_e32 v5, 0x2f800000, v1
	v_trunc_f32_e32 v5, v5
	v_fmac_f32_e32 v1, 0xcf800000, v5
	v_cvt_u32_f32_e32 v5, v5
	v_cvt_u32_f32_e32 v1, v1
	v_mul_lo_u32 v8, s2, v5
	v_mul_hi_u32 v10, s2, v1
	v_mul_lo_u32 v9, s3, v1
	v_add_u32_e32 v10, v10, v8
	v_mul_lo_u32 v12, s2, v1
	v_add_u32_e32 v13, v10, v9
	v_mul_hi_u32 v8, v1, v12
	v_mul_hi_u32 v11, v1, v13
	v_mul_lo_u32 v10, v1, v13
	v_mov_b32_e32 v9, v4
	v_lshl_add_u64 v[8:9], v[8:9], 0, v[10:11]
	v_mul_hi_u32 v11, v5, v12
	v_mul_lo_u32 v12, v5, v12
	v_add_co_u32_e32 v8, vcc, v8, v12
	v_mul_hi_u32 v10, v5, v13
	s_nop 0
	v_addc_co_u32_e32 v8, vcc, v9, v11, vcc
	v_mov_b32_e32 v9, v4
	s_nop 0
	v_addc_co_u32_e32 v11, vcc, 0, v10, vcc
	v_mul_lo_u32 v10, v5, v13
	v_lshl_add_u64 v[8:9], v[8:9], 0, v[10:11]
	v_add_co_u32_e32 v1, vcc, v1, v8
	v_mul_lo_u32 v10, s2, v1
	s_nop 0
	v_addc_co_u32_e32 v5, vcc, v5, v9, vcc
	v_mul_lo_u32 v8, s2, v5
	v_mul_hi_u32 v9, s2, v1
	v_add_u32_e32 v8, v9, v8
	v_mul_lo_u32 v9, s3, v1
	v_add_u32_e32 v12, v8, v9
	v_mul_hi_u32 v14, v5, v10
	v_mul_lo_u32 v15, v5, v10
	v_mul_hi_u32 v9, v1, v12
	v_mul_lo_u32 v8, v1, v12
	v_mul_hi_u32 v10, v1, v10
	v_mov_b32_e32 v11, v4
	v_lshl_add_u64 v[8:9], v[10:11], 0, v[8:9]
	v_add_co_u32_e32 v8, vcc, v8, v15
	v_mul_hi_u32 v13, v5, v12
	s_nop 0
	v_addc_co_u32_e32 v8, vcc, v9, v14, vcc
	v_mul_lo_u32 v10, v5, v12
	s_nop 0
	v_addc_co_u32_e32 v11, vcc, 0, v13, vcc
	v_mov_b32_e32 v9, v4
	v_lshl_add_u64 v[8:9], v[8:9], 0, v[10:11]
	v_add_co_u32_e32 v1, vcc, v1, v8
	v_mul_hi_u32 v10, v6, v1
	s_nop 0
	v_addc_co_u32_e32 v5, vcc, v5, v9, vcc
	v_mad_u64_u32 v[8:9], s[2:3], v6, v5, 0
	v_mov_b32_e32 v11, v4
	v_lshl_add_u64 v[8:9], v[10:11], 0, v[8:9]
	v_mad_u64_u32 v[12:13], s[2:3], v7, v1, 0
	v_add_co_u32_e32 v1, vcc, v8, v12
	v_mad_u64_u32 v[10:11], s[2:3], v7, v5, 0
	s_nop 0
	v_addc_co_u32_e32 v8, vcc, v9, v13, vcc
	v_mov_b32_e32 v9, v4
	s_nop 0
	v_addc_co_u32_e32 v11, vcc, 0, v11, vcc
	v_lshl_add_u64 v[8:9], v[8:9], 0, v[10:11]
	v_mul_lo_u32 v1, s19, v8
	v_mul_lo_u32 v5, s18, v9
	v_mad_u64_u32 v[10:11], s[2:3], s18, v8, 0
	v_add3_u32 v1, v11, v5, v1
	v_sub_u32_e32 v5, v7, v1
	v_mov_b32_e32 v11, s19
	v_sub_co_u32_e32 v14, vcc, v6, v10
	v_lshl_add_u64 v[12:13], v[8:9], 0, 1
	s_nop 0
	v_subb_co_u32_e64 v5, s[2:3], v5, v11, vcc
	v_subrev_co_u32_e64 v10, s[2:3], s18, v14
	v_subb_co_u32_e32 v1, vcc, v7, v1, vcc
	s_nop 0
	v_subbrev_co_u32_e64 v5, s[2:3], 0, v5, s[2:3]
	v_cmp_le_u32_e64 s[2:3], s19, v5
	v_cmp_le_u32_e32 vcc, s19, v1
	s_nop 0
	v_cndmask_b32_e64 v11, 0, -1, s[2:3]
	v_cmp_le_u32_e64 s[2:3], s18, v10
	s_nop 1
	v_cndmask_b32_e64 v10, 0, -1, s[2:3]
	v_cmp_eq_u32_e64 s[2:3], s19, v5
	s_nop 1
	v_cndmask_b32_e64 v5, v11, v10, s[2:3]
	v_lshl_add_u64 v[10:11], v[8:9], 0, 2
	v_cmp_ne_u32_e64 s[2:3], 0, v5
	s_nop 1
	v_cndmask_b32_e64 v5, v13, v11, s[2:3]
	v_cndmask_b32_e64 v11, 0, -1, vcc
	v_cmp_le_u32_e32 vcc, s18, v14
	s_nop 1
	v_cndmask_b32_e64 v13, 0, -1, vcc
	v_cmp_eq_u32_e32 vcc, s19, v1
	s_nop 1
	v_cndmask_b32_e32 v1, v11, v13, vcc
	v_cmp_ne_u32_e32 vcc, 0, v1
	v_cndmask_b32_e64 v1, v12, v10, s[2:3]
	s_nop 0
	v_cndmask_b32_e32 v9, v9, v5, vcc
	v_cndmask_b32_e32 v8, v8, v1, vcc
.LBB0_4:                                ;   in Loop: Header=BB0_2 Depth=1
	s_andn2_saveexec_b64 s[2:3], s[20:21]
	s_cbranch_execz .LBB0_6
; %bb.5:                                ;   in Loop: Header=BB0_2 Depth=1
	v_cvt_f32_u32_e32 v1, s18
	s_sub_i32 s20, 0, s18
	v_rcp_iflag_f32_e32 v1, v1
	s_nop 0
	v_mul_f32_e32 v1, 0x4f7ffffe, v1
	v_cvt_u32_f32_e32 v1, v1
	v_mul_lo_u32 v5, s20, v1
	v_mul_hi_u32 v5, v1, v5
	v_add_u32_e32 v1, v1, v5
	v_mul_hi_u32 v1, v6, v1
	v_mul_lo_u32 v5, v1, s18
	v_sub_u32_e32 v5, v6, v5
	v_add_u32_e32 v8, 1, v1
	v_subrev_u32_e32 v9, s18, v5
	v_cmp_le_u32_e32 vcc, s18, v5
	s_nop 1
	v_cndmask_b32_e32 v5, v5, v9, vcc
	v_cndmask_b32_e32 v1, v1, v8, vcc
	v_add_u32_e32 v8, 1, v1
	v_cmp_le_u32_e32 vcc, s18, v5
	v_mov_b32_e32 v9, v4
	s_nop 0
	v_cndmask_b32_e32 v8, v1, v8, vcc
.LBB0_6:                                ;   in Loop: Header=BB0_2 Depth=1
	s_or_b64 exec, exec, s[2:3]
	v_mad_u64_u32 v[10:11], s[2:3], v8, s18, 0
	s_load_dwordx2 s[2:3], s[12:13], 0x0
	v_mul_lo_u32 v1, v9, s18
	v_mul_lo_u32 v5, v8, s19
	v_add3_u32 v1, v11, v5, v1
	v_sub_co_u32_e32 v5, vcc, v6, v10
	s_add_u32 s14, s14, 1
	s_nop 0
	v_subb_co_u32_e32 v1, vcc, v7, v1, vcc
	s_addc_u32 s15, s15, 0
	s_waitcnt lgkmcnt(0)
	v_mul_lo_u32 v1, s2, v1
	v_mul_lo_u32 v6, s3, v5
	v_mad_u64_u32 v[2:3], s[2:3], s2, v5, v[2:3]
	s_add_u32 s12, s12, 8
	v_add3_u32 v3, v6, v3, v1
	s_addc_u32 s13, s13, 0
	v_mov_b64_e32 v[6:7], s[6:7]
	s_add_u32 s16, s16, 8
	v_cmp_ge_u64_e32 vcc, s[14:15], v[6:7]
	s_addc_u32 s17, s17, 0
	s_cbranch_vccnz .LBB0_9
; %bb.7:                                ;   in Loop: Header=BB0_2 Depth=1
	v_mov_b64_e32 v[6:7], v[8:9]
	s_branch .LBB0_2
.LBB0_8:
	v_mov_b64_e32 v[8:9], v[6:7]
.LBB0_9:
	s_lshl_b64 s[2:3], s[6:7], 3
	s_add_u32 s2, s10, s2
	s_addc_u32 s3, s11, s3
	s_load_dwordx2 s[6:7], s[2:3], 0x0
	s_load_dwordx2 s[10:11], s[0:1], 0x20
	s_mov_b32 s2, 0x1681682
                                        ; implicit-def: $vgpr10
                                        ; implicit-def: $vgpr25
                                        ; implicit-def: $vgpr26
                                        ; implicit-def: $vgpr22
                                        ; implicit-def: $vgpr16
                                        ; implicit-def: $vgpr21
                                        ; implicit-def: $vgpr12
                                        ; implicit-def: $vgpr14
                                        ; implicit-def: $vgpr18
	s_waitcnt lgkmcnt(0)
	v_mul_lo_u32 v1, s6, v9
	v_mul_lo_u32 v6, s7, v8
	v_mad_u64_u32 v[4:5], s[0:1], s6, v8, v[2:3]
	v_add3_u32 v5, v6, v5, v1
	v_mul_hi_u32 v1, v0, s2
	v_mul_u32_u24_e32 v1, 0xb6, v1
	v_cmp_gt_u64_e64 s[0:1], s[10:11], v[8:9]
	v_sub_u32_e32 v2, v0, v1
	v_lshl_add_u64 v[0:1], v[4:5], 3, s[8:9]
                                        ; implicit-def: $vgpr4
                                        ; implicit-def: $vgpr8
                                        ; implicit-def: $vgpr6
	s_and_saveexec_b64 s[2:3], s[0:1]
	s_cbranch_execz .LBB0_11
; %bb.10:
	v_mov_b32_e32 v3, 0
	v_lshl_add_u64 v[16:17], v[2:3], 3, v[0:1]
	v_add_co_u32_e32 v18, vcc, 0x1000, v16
	s_nop 1
	v_addc_co_u32_e32 v19, vcc, 0, v17, vcc
	v_add_co_u32_e32 v20, vcc, 0x2000, v16
	global_load_dwordx2 v[10:11], v[16:17], off
	global_load_dwordx2 v[8:9], v[16:17], off offset:1456
	global_load_dwordx2 v[24:25], v[16:17], off offset:2912
	;; [unrolled: 1-line block ×3, first 2 shown]
	v_addc_co_u32_e32 v21, vcc, 0, v17, vcc
	v_add_co_u32_e32 v16, vcc, 0x3000, v16
	global_load_dwordx2 v[28:29], v[18:19], off offset:1728
	global_load_dwordx2 v[14:15], v[18:19], off offset:3184
	;; [unrolled: 1-line block ×5, first 2 shown]
	v_addc_co_u32_e32 v17, vcc, 0, v17, vcc
	global_load_dwordx2 v[18:19], v[16:17], off offset:816
	s_waitcnt vmcnt(9)
	v_mov_b32_e32 v27, v11
	s_waitcnt vmcnt(8)
	v_mov_b32_e32 v21, v9
	;; [unrolled: 2-line block ×4, first 2 shown]
	v_mov_b32_e32 v23, v28
	s_waitcnt vmcnt(3)
	v_mov_b32_e32 v17, v4
	s_waitcnt vmcnt(1)
	v_mov_b32_e32 v16, v30
	v_mov_b32_e32 v4, v31
.LBB0_11:
	s_or_b64 exec, exec, s[2:3]
	v_mov_b32_e32 v32, v13
	v_mov_b32_e32 v33, v15
	s_waitcnt vmcnt(0)
	v_mov_b32_e32 v34, v19
	v_mov_b32_e32 v35, v7
	v_add_f32_e32 v3, v10, v22
	v_mov_b32_e32 v28, v23
	v_mov_b32_e32 v29, v22
	v_pk_add_f32 v[32:33], v[32:33], v[34:35] neg_lo:[0,1] neg_hi:[0,1]
	v_pk_add_f32 v[34:35], v[18:19], v[6:7] neg_lo:[0,1] neg_hi:[0,1]
	;; [unrolled: 1-line block ×3, first 2 shown]
	v_mov_b32_e32 v54, v15
	v_mov_b32_e32 v55, v7
	;; [unrolled: 1-line block ×4, first 2 shown]
	v_add_f32_e32 v46, v3, v23
	v_pk_add_f32 v[50:51], v[22:23], v[28:29] neg_lo:[0,1] neg_hi:[0,1]
	v_mov_b32_e32 v28, v17
	v_mov_b32_e32 v29, v16
	s_mov_b32 s2, 0x3f737871
	v_mov_b32_e32 v38, v14
	v_mov_b32_e32 v39, v6
	;; [unrolled: 1-line block ×9, first 2 shown]
	v_pk_add_f32 v[54:55], v[54:55], v[56:57] neg_lo:[0,1] neg_hi:[0,1]
	v_pk_add_f32 v[52:53], v[16:17], v[28:29] neg_lo:[0,1] neg_hi:[0,1]
	v_pk_add_f32 v[28:29], v[14:15], v[6:7]
	s_mov_b32 s3, 0x3f167918
	v_pk_add_f32 v[38:39], v[38:39], v[40:41] neg_lo:[0,1] neg_hi:[0,1]
	v_pk_add_f32 v[40:41], v[12:13], v[18:19] neg_lo:[0,1] neg_hi:[0,1]
	v_pk_add_f32 v[48:49], v[20:21], v[24:25]
	v_pk_add_f32 v[42:43], v[2:3], v[42:43] neg_lo:[0,1] neg_hi:[0,1]
	v_mov_b32_e32 v20, v55
	v_fma_f32 v9, -0.5, v28, v8
	s_mov_b32 s6, 0x3e9e377a
	v_mul_f32_e32 v29, 0.5, v29
	v_mul_f32_e32 v11, 0x3f737871, v40
	v_mov_b32_e32 v49, v43
	s_mov_b32 s7, s3
	v_pk_add_f32 v[54:55], v[54:55], v[20:21]
	v_mov_b32_e32 v20, v12
	v_mov_b32_e32 v28, v14
	v_pk_mul_f32 v[56:57], v[48:49], s[6:7]
	v_pk_add_f32 v[28:29], v[20:21], v[28:29] neg_lo:[0,1] neg_hi:[0,1]
	v_mov_b32_e32 v35, v11
	v_pk_add_f32 v[34:35], v[28:29], v[34:35]
	v_mov_b32_e32 v58, 0x3e9e377a
	v_mov_b32_e32 v59, v57
	v_pk_mul_f32 v[64:65], v[32:33], s[2:3]
	v_pk_add_f32 v[36:37], v[12:13], v[18:19]
	v_pk_mul_f32 v[58:59], v[58:59], v[34:35]
	v_pk_fma_f32 v[34:35], v[48:49], s[6:7], v[34:35]
	v_pk_add_f32 v[60:61], v[4:5], v[4:5] op_sel_hi:[1,0] neg_lo:[0,1] neg_hi:[0,1]
	v_add_f32_e32 v3, v38, v39
	v_sub_f32_e32 v11, v9, v64
	v_fmac_f32_e32 v29, 0xbf737871, v40
	v_fma_f32 v37, -0.5, v37, v21
	s_mov_b32 s8, -0.5
	v_mov_b32_e32 v59, v35
	v_mul_f32_e32 v60, 0x3e9e377a, v3
	v_sub_f32_e32 v28, v11, v65
	v_sub_f32_e32 v3, v29, v57
	v_add_f32_e32 v64, v9, v64
	v_mov_b32_e32 v29, v56
	v_mov_b32_e32 v20, v65
	;; [unrolled: 1-line block ×3, first 2 shown]
	v_pk_add_f32 v[44:45], v[22:23], v[16:17]
	v_pk_add_f32 v[30:31], v[22:23], v[16:17] neg_lo:[0,1] neg_hi:[0,1]
	v_add_f32_e32 v22, v25, v4
	v_fma_f32 v47, -0.5, v36, v8
	v_fmamk_f32 v42, v43, 0xbf737871, v37
	v_fmac_f32_e32 v37, 0x3f737871, v43
	s_mov_b32 s9, 0xbf167918
	v_pk_add_f32 v[34:35], v[28:29], v[58:59]
	v_mov_b32_e32 v23, v40
	v_mov_b32_e32 v36, v27
	v_pk_add_f32 v[20:21], v[20:21], v[64:65]
	v_mov_b32_e32 v59, v15
	v_fmac_f32_e32 v42, 0x3f167918, v40
	v_pk_fma_f32 v[40:41], v[22:23], s[8:9], v[36:37]
	v_pk_add_f32 v[36:37], v[20:21], v[58:59]
	v_mov_b32_e32 v20, v25
	v_mov_b32_e32 v21, v26
	v_add_f32_e32 v49, v56, v3
	v_mov_b32_e32 v55, v31
	s_mov_b32 s7, s2
	v_mov_b32_e32 v43, v40
	v_pk_add_f32 v[20:21], v[20:21], v[4:5] neg_lo:[0,1] neg_hi:[0,1]
	v_pk_fma_f32 v[10:11], -0.5, v[44:45], v[10:11] op_sel_hi:[0,1,0]
	s_mov_b32 s8, s3
	v_fmamk_f32 v62, v33, 0x3f737871, v47
	v_mul_f32_e32 v24, 0x3f167918, v32
	v_mul_f32_e32 v9, 0xbf167918, v49
	v_pk_mul_f32 v[28:29], v[54:55], s[6:7]
	v_mov_b32_e32 v63, v26
	v_pk_fma_f32 v[42:43], v[54:55], s[6:7], v[42:43]
	v_pk_fma_f32 v[44:45], v[20:21], s[2:3], v[10:11] op_sel:[0,0,1] op_sel_hi:[1,0,0]
	v_pk_mul_f32 v[54:55], v[20:21], s[8:9] op_sel_hi:[1,0]
	v_pk_add_f32 v[50:51], v[50:51], v[52:53]
	v_pk_fma_f32 v[10:11], v[20:21], s[2:3], v[10:11] op_sel:[0,0,1] op_sel_hi:[1,0,0] neg_lo:[1,0,0] neg_hi:[1,0,0]
	v_fmac_f32_e32 v47, 0xbf737871, v33
	v_pk_add_f32 v[22:23], v[62:63], v[24:25] neg_lo:[0,1] neg_hi:[0,1]
	v_fmamk_f32 v48, v36, 0xbf4f1bbd, v9
	v_pk_mul_f32 v[20:21], v[50:51], s[6:7] op_sel_hi:[1,0]
	v_add_f32_e32 v9, v55, v44
	v_mov_b32_e32 v44, v10
	s_mov_b32 s11, 0xbf737871
	v_pk_add_f32 v[38:39], v[22:23], v[60:61]
	v_mov_b32_e32 v53, v54
	v_add_f32_e32 v58, v20, v9
	v_pk_add_f32 v[44:45], v[44:45], v[54:55] op_sel:[0,1] op_sel_hi:[1,0] neg_lo:[0,1] neg_hi:[0,1]
	v_mov_b32_e32 v54, v35
	v_mov_b32_e32 v55, v42
	s_mov_b32 s10, s9
	v_mov_b32_e32 v9, v24
	v_mov_b32_e32 v13, v47
	v_pk_fma_f32 v[50:51], v[50:51], s[6:7], v[44:45] op_sel_hi:[1,0,1]
	v_mov_b32_e32 v44, v34
	v_mov_b32_e32 v45, v38
	s_mov_b32 s2, 0x3f4f1bbd
	s_mov_b32 s3, s6
	v_pk_mul_f32 v[54:55], v[54:55], s[10:11]
	v_pk_add_f32 v[12:13], v[8:9], v[12:13]
	v_mov_b32_e32 v15, v60
	v_pk_fma_f32 v[54:55], v[44:45], s[2:3], v[54:55]
	v_pk_add_f32 v[44:45], v[12:13], v[14:15]
	v_mov_b32_e32 v47, v11
	v_pk_add_f32 v[14:15], v[44:45], v[6:7]
	v_mov_b32_e32 v52, v17
	v_pk_add_f32 v[32:33], v[40:41], v[28:29] op_sel:[0,1] op_sel_hi:[1,0]
	v_pk_add_f32 v[56:57], v[14:15], v[18:19]
	v_pk_add_f32 v[14:15], v[46:47], v[52:53]
	v_mov_b32_e32 v17, v21
	v_mul_f32_e32 v23, 0x3f737871, v33
	v_mov_b32_e32 v13, 0xbe9e377a
	v_mov_b32_e32 v12, v6
	;; [unrolled: 1-line block ×3, first 2 shown]
	v_pk_add_f32 v[16:17], v[14:15], v[16:17]
	v_pk_fma_f32 v[12:13], v[44:45], v[12:13], v[22:23] neg_lo:[0,0,1] neg_hi:[0,0,1]
	v_mov_b32_e32 v14, v16
	v_mov_b32_e32 v15, v50
	;; [unrolled: 1-line block ×5, first 2 shown]
	v_pk_add_f32 v[14:15], v[14:15], v[20:21]
	v_mov_b32_e32 v20, v51
	v_mov_b32_e32 v21, v17
	;; [unrolled: 1-line block ×3, first 2 shown]
	v_mul_u32_u24_e32 v11, 10, v2
	s_movk_i32 s2, 0x8b
	v_mov_b32_e32 v3, v26
	v_add_f32_e32 v10, v58, v48
	v_pk_add_f32 v[8:9], v[50:51], v[54:55] neg_lo:[0,1] neg_hi:[0,1]
	v_pk_add_f32 v[12:13], v[20:21], v[12:13]
	v_pk_add_f32 v[20:21], v[16:17], v[56:57] neg_lo:[0,1] neg_hi:[0,1]
	v_sub_f32_e32 v17, v58, v48
	v_lshl_add_u32 v48, v11, 2, 0
	v_cmp_lt_u32_e32 vcc, s2, v2
	ds_write2_b64 v48, v[14:15], v[12:13] offset1:1
	ds_write2_b32 v48, v20, v8 offset0:5 offset1:6
	v_mov_b32_e32 v16, v9
	v_mov_b32_e32 v11, v21
	ds_write2_b32 v48, v9, v21 offset0:7 offset1:8
	ds_write2_b32 v48, v10, v17 offset0:4 offset1:9
	s_waitcnt lgkmcnt(0)
	s_barrier
	s_waitcnt lgkmcnt(0)
                                        ; implicit-def: $vgpr22_vgpr23
	s_and_saveexec_b64 s[2:3], vcc
	s_xor_b64 s[2:3], exec, s[2:3]
; %bb.12:
	v_mov_b64_e32 v[22:23], v[20:21]
; %bb.13:
	s_or_saveexec_b64 s[2:3], s[2:3]
	v_mov_b32_e32 v46, v29
	v_mov_b32_e32 v47, v28
                                        ; implicit-def: $vgpr29
                                        ; implicit-def: $vgpr44
	s_xor_b64 exec, exec, s[2:3]
	s_cbranch_execz .LBB0_15
; %bb.14:
	s_movk_i32 s6, 0xffdc
	v_mad_i32_i24 v20, v2, s6, v48
	v_add_u32_e32 v8, 0x400, v20
	ds_read2_b32 v[12:13], v8 offset0:24 offset1:164
	v_add_u32_e32 v8, 0x800, v20
	v_add_u32_e32 v16, 0x1000, v20
	ds_read2_b32 v[10:11], v8 offset0:48 offset1:188
	v_add_u32_e32 v8, 0xc00, v20
	ds_read2_b32 v[16:17], v16 offset0:96 offset1:236
	v_add_u32_e32 v21, 0x1500, v20
	ds_read2_b32 v[14:15], v20 offset1:140
	ds_read2_b32 v[8:9], v8 offset0:72 offset1:212
	ds_read2_b32 v[28:29], v21 offset0:56 offset1:196
	ds_read_b32 v44, v20 offset:6720
	s_waitcnt lgkmcnt(5)
	v_mov_b32_e32 v22, v11
	s_waitcnt lgkmcnt(4)
	v_mov_b32_e32 v23, v16
	v_mov_b32_e32 v20, v11
	;; [unrolled: 1-line block ×3, first 2 shown]
.LBB0_15:
	s_or_b64 exec, exec, s[2:3]
	v_mov_b32_e32 v16, v25
	v_mov_b32_e32 v24, v25
	v_pk_add_f32 v[24:25], v[24:25], v[26:27] op_sel_hi:[0,1]
	v_pk_add_f32 v[50:51], v[16:17], v[26:27] neg_lo:[0,1] neg_hi:[0,1]
	v_add_f32_e32 v11, v26, v5
	s_mov_b32 s3, 0x3f167918
	s_mov_b32 s2, 0x3f737871
	v_mov_b32_e32 v51, v25
	v_mov_b32_e32 v16, v5
	v_fmac_f32_e32 v27, -0.5, v11
	v_pk_mul_f32 v[24:25], v[30:31], s[2:3]
	s_mov_b32 s7, 0x3f4f1bbd
	s_mov_b32 s6, s3
	v_add_f32_e32 v11, v27, v24
	v_pk_add_f32 v[52:53], v[4:5], v[16:17] neg_lo:[0,1] neg_hi:[0,1]
	v_sub_f32_e32 v16, v27, v24
	v_mul_f32_e32 v27, 0x3f167918, v30
	v_pk_mul_f32 v[30:31], v[34:35], s[6:7]
	v_sub_f32_e32 v24, v16, v25
	v_mov_b32_e32 v16, v31
	s_mov_b32 s3, 0x3e9e377a
	v_pk_fma_f32 v[34:35], v[34:35], s[6:7], v[16:17]
	s_mov_b32 s6, s3
	v_mov_b32_e32 v26, 0x3e9e377a
	v_pk_add_f32 v[40:41], v[40:41], v[46:47] neg_lo:[0,1] neg_hi:[0,1]
	v_pk_add_f32 v[46:47], v[42:43], v[26:27] neg_lo:[0,1] neg_hi:[0,1]
	v_pk_mul_f32 v[42:43], v[42:43], s[6:7]
	v_mov_b32_e32 v53, v3
	v_mov_b32_e32 v43, v47
	v_pk_mul_f32 v[30:31], v[38:39], s[2:3]
	v_pk_fma_f32 v[38:39], v[38:39], s[2:3], v[42:43]
	v_mov_b32_e32 v42, v27
	v_mov_b32_e32 v43, v26
	v_pk_add_f32 v[46:47], v[50:51], v[52:53]
	v_mov_b32_e32 v27, v5
	v_add_f32_e32 v11, v25, v11
	v_pk_add_f32 v[40:41], v[40:41], v[42:43]
	v_mul_f32_e32 v42, 0x3f4f1bbd, v49
	v_pk_add_f32 v[50:51], v[46:47], v[4:5]
	v_pk_mul_f32 v[26:27], v[46:47], v[26:27]
	v_mov_b32_e32 v25, v4
	v_mov_b32_e32 v4, 0x3f167918
	;; [unrolled: 1-line block ×3, first 2 shown]
	v_pk_add_f32 v[6:7], v[36:37], v[6:7]
	v_mov_b32_e32 v43, v19
	v_mov_b32_e32 v30, v31
	;; [unrolled: 1-line block ×3, first 2 shown]
	v_pk_add_f32 v[6:7], v[6:7], v[18:19]
	v_pk_fma_f32 v[36:37], v[36:37], v[4:5], v[42:43] neg_lo:[0,0,1] neg_hi:[0,0,1]
	v_mul_f32_e32 v31, 0x3f737871, v45
	v_pk_add_f32 v[50:51], v[26:27], v[24:25]
	v_mov_b32_e32 v37, v7
	v_pk_fma_f32 v[6:7], v[32:33], s[2:3], v[30:31] neg_lo:[1,0,0] neg_hi:[1,0,0]
	v_pk_add_f32 v[24:25], v[30:31], v[40:41]
	v_add_f32_e32 v46, v26, v11
	v_pk_add_f32 v[4:5], v[50:51], v[36:37]
	v_mov_b32_e32 v25, v7
	v_pk_add_f32 v[30:31], v[50:51], v[36:37] neg_lo:[0,1] neg_hi:[0,1]
	v_mov_b32_e32 v47, v24
	v_mov_b32_e32 v35, v38
	;; [unrolled: 1-line block ×6, first 2 shown]
	v_add_f32_e32 v19, v46, v34
	v_pk_add_f32 v[26:27], v[38:39], v[24:25]
	v_pk_add_f32 v[24:25], v[46:47], v[34:35] neg_lo:[0,1] neg_hi:[0,1]
	v_pk_add_f32 v[32:33], v[32:33], v[6:7] neg_lo:[0,1] neg_hi:[0,1]
	v_mov_b32_e32 v18, v5
	v_mov_b32_e32 v30, v4
	s_waitcnt lgkmcnt(0)
	s_barrier
	ds_write2_b64 v48, v[18:19], v[26:27] offset1:1
	ds_write2_b64 v48, v[30:31], v[24:25] offset0:2 offset1:3
	ds_write_b64 v48, v[32:33] offset:32
	s_waitcnt lgkmcnt(0)
	s_barrier
	s_waitcnt lgkmcnt(0)
                                        ; implicit-def: $vgpr6_vgpr7
	s_and_saveexec_b64 s[2:3], vcc
	s_xor_b64 s[2:3], exec, s[2:3]
; %bb.16:
	v_mov_b64_e32 v[6:7], v[4:5]
                                        ; implicit-def: $vgpr48
; %bb.17:
	s_or_saveexec_b64 s[2:3], s[2:3]
                                        ; implicit-def: $vgpr35
                                        ; implicit-def: $vgpr11
	s_xor_b64 exec, exec, s[2:3]
	s_cbranch_execz .LBB0_19
; %bb.18:
	s_movk_i32 s6, 0xffdc
	v_mad_i32_i24 v3, v2, s6, v48
	v_add_u32_e32 v4, 0x400, v3
	ds_read2_b32 v[26:27], v4 offset0:24 offset1:164
	v_add_u32_e32 v4, 0x800, v3
	ds_read2_b32 v[30:31], v4 offset0:48 offset1:188
	v_add_u32_e32 v4, 0xc00, v3
	ds_read2_b32 v[24:25], v4 offset0:72 offset1:212
	v_add_u32_e32 v4, 0x1000, v3
	ds_read2_b32 v[18:19], v3 offset1:140
	ds_read2_b32 v[32:33], v4 offset0:96 offset1:236
	v_add_u32_e32 v4, 0x1500, v3
	ds_read2_b32 v[34:35], v4 offset0:56 offset1:196
	ds_read_b32 v11, v3 offset:6720
	s_waitcnt lgkmcnt(5)
	v_mov_b32_e32 v6, v30
	s_waitcnt lgkmcnt(3)
	v_mov_b32_e32 v7, v18
	v_mov_b32_e32 v5, v18
	;; [unrolled: 1-line block ×3, first 2 shown]
.LBB0_19:
	s_or_b64 exec, exec, s[2:3]
	s_movk_i32 s2, 0xcd
	v_mul_lo_u16_sdwa v3, v2, s2 dst_sel:DWORD dst_unused:UNUSED_PAD src0_sel:BYTE_0 src1_sel:DWORD
	v_lshrrev_b16_e32 v3, 11, v3
	v_mul_lo_u16_e32 v16, 10, v3
	v_sub_u16_e32 v71, v2, v16
	v_mov_b32_e32 v16, 12
	v_mul_u32_u24_sdwa v16, v71, v16 dst_sel:DWORD dst_unused:UNUSED_PAD src0_sel:BYTE_0 src1_sel:DWORD
	v_lshlrev_b32_e32 v16, 3, v16
	global_load_dwordx4 v[36:39], v16, s[4:5]
	global_load_dwordx4 v[40:43], v16, s[4:5] offset:16
	global_load_dwordx4 v[46:49], v16, s[4:5] offset:32
	;; [unrolled: 1-line block ×5, first 2 shown]
	v_mov_b32_e32 v62, v31
	s_waitcnt lgkmcnt(2)
	v_mov_b32_e32 v63, v32
	s_mov_b32 s24, 0xbeedf032
	s_mov_b32 s2, 0x3f62ad3f
	;; [unrolled: 1-line block ×34, first 2 shown]
	s_waitcnt lgkmcnt(0)
	s_barrier
	s_waitcnt vmcnt(5)
	v_mul_f32_e32 v16, v15, v37
	v_mul_f32_e32 v91, v19, v37
	s_waitcnt vmcnt(3)
	v_mul_f32_e32 v20, v20, v47
	v_mov_b32_e32 v68, v47
	v_mul_f32_e32 v92, v26, v39
	s_waitcnt vmcnt(0)
	v_mul_f32_e32 v47, v44, v61
	v_mul_f32_e32 v18, v12, v39
	;; [unrolled: 1-line block ×4, first 2 shown]
	v_mov_b32_e32 v69, v53
	v_mul_f32_e32 v97, v35, v59
	v_mul_f32_e32 v45, v29, v59
	;; [unrolled: 1-line block ×3, first 2 shown]
	v_fma_f32 v72, v19, v36, -v16
	v_fma_f32 v81, v11, v60, -v47
	v_mul_f32_e32 v30, v13, v41
	v_mul_f32_e32 v94, v4, v43
	;; [unrolled: 1-line block ×4, first 2 shown]
	v_mov_b32_e32 v65, v50
	v_mov_b32_e32 v66, v46
	;; [unrolled: 1-line block ×3, first 2 shown]
	v_mul_f32_e32 v43, v28, v57
	v_fmac_f32_e32 v91, v15, v36
	v_fmac_f32_e32 v92, v12, v38
	v_fma_f32 v73, v26, v38, -v18
	v_fmac_f32_e32 v93, v13, v40
	v_fmac_f32_e32 v95, v9, v50
	v_mov_b32_e32 v50, v49
	v_pk_mul_f32 v[12:13], v[62:63], v[68:69]
	v_fmac_f32_e32 v97, v29, v58
	v_fma_f32 v80, v35, v58, -v45
	v_fmac_f32_e32 v98, v44, v60
	v_sub_f32_e32 v58, v72, v81
	v_mov_b32_e32 v64, v48
	v_mul_f32_e32 v39, v21, v53
	v_mul_f32_e32 v21, v33, v55
	;; [unrolled: 1-line block ×4, first 2 shown]
	v_fma_f32 v74, v27, v40, -v30
	v_fmac_f32_e32 v90, v8, v48
	v_fma_f32 v79, v34, v56, -v43
	v_pk_mul_f32 v[8:9], v[8:9], v[50:51]
	v_pk_fma_f32 v[18:19], v[22:23], v[66:67], v[12:13]
	v_add_f32_e32 v44, v91, v98
	v_sub_f32_e32 v60, v73, v80
	v_pk_mul_f32 v[22:23], v[58:59], s[24:25] op_sel_hi:[0,1]
	v_fmac_f32_e32 v94, v10, v42
	v_fma_f32 v75, v4, v42, -v37
	v_fmac_f32_e32 v21, v17, v54
	v_fma_f32 v78, v33, v54, -v41
	v_fmac_f32_e32 v96, v28, v56
	v_add_f32_e32 v42, v92, v97
	v_sub_f32_e32 v66, v74, v79
	v_pk_fma_f32 v[16:17], v[24:25], v[64:65], v[8:9] neg_lo:[0,0,1] neg_hi:[0,0,1]
	v_pk_mul_f32 v[24:25], v[60:61], s[20:21] op_sel_hi:[0,1]
	v_pk_fma_f32 v[8:9], v[44:45], s[2:3], v[22:23] op_sel_hi:[0,1,1] neg_lo:[0,0,1] neg_hi:[0,0,1]
	v_fma_f32 v76, v31, v46, -v20
	v_fma_f32 v77, v32, v52, -v39
	v_add_f32_e32 v36, v93, v96
	v_sub_f32_e32 v68, v75, v78
	v_pk_add_f32 v[8:9], v[14:15], v[8:9] op_sel_hi:[0,1]
	v_pk_fma_f32 v[10:11], v[42:43], s[6:7], v[24:25] op_sel_hi:[0,1,1] neg_lo:[0,0,1] neg_hi:[0,0,1]
	v_pk_mul_f32 v[26:27], v[66:67], s[10:11] op_sel_hi:[0,1]
	v_add_f32_e32 v38, v94, v21
	v_sub_f32_e32 v70, v76, v77
	v_mov_b32_e32 v4, v19
	v_mov_b32_e32 v20, v17
	v_pk_add_f32 v[8:9], v[10:11], v[8:9]
	v_pk_fma_f32 v[10:11], v[36:37], s[8:9], v[26:27] op_sel_hi:[0,1,1] neg_lo:[0,0,1] neg_hi:[0,0,1]
	s_mov_b32 s10, s9
	s_mov_b32 s11, s2
	v_pk_mul_f32 v[28:29], v[68:69], s[28:29] op_sel_hi:[0,1]
	v_pk_add_f32 v[40:41], v[18:19], v[4:5]
	v_pk_add_f32 v[82:83], v[16:17], v[20:21] neg_lo:[0,1] neg_hi:[0,1]
	v_pk_add_f32 v[8:9], v[10:11], v[8:9]
	v_pk_fma_f32 v[10:11], v[38:39], s[10:11], v[28:29] op_sel_hi:[0,1,1] neg_lo:[0,0,1] neg_hi:[0,0,1]
	v_pk_mul_f32 v[30:31], v[70:71], s[30:31] op_sel_hi:[0,1]
	v_add_f32_e32 v34, v90, v95
	v_pk_add_f32 v[8:9], v[10:11], v[8:9]
	v_pk_fma_f32 v[10:11], v[40:41], s[12:13], v[30:31] op_sel_hi:[0,1,1] neg_lo:[0,0,1] neg_hi:[0,0,1]
	v_pk_mul_f32 v[32:33], v[82:83], s[34:35] op_sel_hi:[0,1]
	v_pk_add_f32 v[8:9], v[10:11], v[8:9]
	v_pk_fma_f32 v[10:11], v[34:35], s[14:15], v[32:33] op_sel_hi:[0,1,1] neg_lo:[0,0,1] neg_hi:[0,0,1]
	v_pk_mul_f32 v[46:47], v[58:59], s[16:17] op_sel_hi:[0,1]
	v_pk_add_f32 v[10:11], v[10:11], v[8:9]
	v_pk_fma_f32 v[8:9], v[44:45], s[22:23], v[46:47] op_sel_hi:[0,1,1] neg_lo:[0,0,1] neg_hi:[0,0,1]
	s_mov_b32 s16, s12
	s_mov_b32 s17, s9
	v_pk_mul_f32 v[48:49], v[60:61], s[26:27] op_sel_hi:[0,1]
	s_mov_b32 s20, s29
	v_pk_add_f32 v[8:9], v[14:15], v[8:9] op_sel_hi:[0,1]
	v_pk_fma_f32 v[12:13], v[42:43], s[16:17], v[48:49] op_sel_hi:[0,1,1] neg_lo:[0,0,1] neg_hi:[0,0,1]
	v_pk_mul_f32 v[50:51], v[66:67], s[20:21] op_sel_hi:[0,1]
	s_mov_b32 s24, s25
	s_mov_b32 s25, s26
	v_pk_add_f32 v[8:9], v[12:13], v[8:9]
	v_pk_fma_f32 v[12:13], v[36:37], s[18:19], v[50:51] op_sel_hi:[0,1,1] neg_lo:[0,0,1] neg_hi:[0,0,1]
	s_mov_b32 s20, s3
	s_mov_b32 s21, s12
	v_pk_mul_f32 v[52:53], v[68:69], s[24:25] op_sel_hi:[0,1]
	v_pk_add_f32 v[8:9], v[12:13], v[8:9]
	v_pk_fma_f32 v[12:13], v[38:39], s[20:21], v[52:53] op_sel_hi:[0,1,1] neg_lo:[0,0,1] neg_hi:[0,0,1]
	s_mov_b32 s24, s7
	s_mov_b32 s25, s3
	v_pk_mul_f32 v[54:55], v[70:71], s[36:37] op_sel_hi:[0,1]
	;; [unrolled: 5-line block ×3, first 2 shown]
	v_pk_add_f32 v[8:9], v[12:13], v[8:9]
	v_pk_fma_f32 v[12:13], v[34:35], s[26:27], v[56:57] op_sel_hi:[0,1,1] neg_lo:[0,0,1] neg_hi:[0,0,1]
	v_pk_mul_f32 v[62:63], v[58:59], s[34:35] op_sel_hi:[0,1]
	s_mov_b32 s34, s29
	s_mov_b32 s35, s37
	v_pk_add_f32 v[12:13], v[12:13], v[8:9]
	v_pk_fma_f32 v[8:9], v[44:45], s[14:15], v[62:63] op_sel_hi:[0,1,1] neg_lo:[0,0,1] neg_hi:[0,0,1]
	v_pk_mul_f32 v[58:59], v[60:61], s[34:35] op_sel_hi:[0,1]
	v_pk_add_f32 v[8:9], v[14:15], v[8:9] op_sel_hi:[0,1]
	v_pk_fma_f32 v[60:61], v[42:43], s[2:3], v[58:59] op_sel_hi:[0,1,1] neg_lo:[0,0,1] neg_hi:[0,0,1]
	v_pk_add_f32 v[8:9], v[60:61], v[8:9]
	v_pk_mul_f32 v[60:61], v[66:67], s[30:31] op_sel_hi:[0,1]
	v_pk_fma_f32 v[64:65], v[36:37], s[12:13], v[60:61] op_sel_hi:[0,1,1] neg_lo:[0,0,1] neg_hi:[0,0,1]
	s_mov_b32 s39, s36
	v_pk_add_f32 v[8:9], v[64:65], v[8:9]
	v_pk_mul_f32 v[64:65], v[68:69], s[38:39] op_sel_hi:[0,1]
	v_pk_fma_f32 v[66:67], v[38:39], s[6:7], v[64:65] op_sel_hi:[0,1,1] neg_lo:[0,0,1] neg_hi:[0,0,1]
	v_pk_add_f32 v[8:9], v[66:67], v[8:9]
	v_pk_mul_f32 v[66:67], v[70:71], s[28:29] op_sel_hi:[0,1]
	v_pk_fma_f32 v[68:69], v[40:41], s[10:11], v[66:67] op_sel_hi:[0,1,1] neg_lo:[0,0,1] neg_hi:[0,0,1]
	s_mov_b32 s30, s37
	s_mov_b32 s31, s28
	v_pk_add_f32 v[8:9], v[68:69], v[8:9]
	v_pk_mul_f32 v[68:69], v[82:83], s[30:31] op_sel_hi:[0,1]
	v_pk_fma_f32 v[82:83], v[34:35], s[8:9], v[68:69] op_sel_hi:[0,1,1] neg_lo:[0,0,1] neg_hi:[0,0,1]
	v_pk_add_f32 v[8:9], v[82:83], v[8:9]
	s_and_saveexec_b64 s[28:29], vcc
	s_xor_b64 s[28:29], exec, s[28:29]
; %bb.20:
                                        ; implicit-def: $vgpr14_vgpr15
                                        ; implicit-def: $vgpr22_vgpr23
                                        ; implicit-def: $vgpr24_vgpr25
                                        ; implicit-def: $vgpr26_vgpr27
                                        ; implicit-def: $vgpr28_vgpr29
                                        ; implicit-def: $vgpr30_vgpr31
                                        ; implicit-def: $vgpr32_vgpr33
                                        ; implicit-def: $vgpr46_vgpr47
                                        ; implicit-def: $vgpr48_vgpr49
                                        ; implicit-def: $vgpr50_vgpr51
                                        ; implicit-def: $vgpr52_vgpr53
                                        ; implicit-def: $vgpr54_vgpr55
                                        ; implicit-def: $vgpr56_vgpr57
                                        ; implicit-def: $vgpr62_vgpr63
                                        ; implicit-def: $vgpr58_vgpr59
                                        ; implicit-def: $vgpr60_vgpr61
                                        ; implicit-def: $vgpr64_vgpr65
                                        ; implicit-def: $vgpr66_vgpr67
                                        ; implicit-def: $vgpr68_vgpr69
                                        ; implicit-def: $vgpr40_vgpr41
                                        ; implicit-def: $vgpr44_vgpr45
                                        ; implicit-def: $vgpr42_vgpr43
                                        ; implicit-def: $vgpr36_vgpr37
                                        ; implicit-def: $vgpr38_vgpr39
                                        ; implicit-def: $vgpr34_vgpr35
; %bb.21:
	s_andn2_saveexec_b64 s[28:29], s[28:29]
	s_cbranch_execz .LBB0_23
; %bb.22:
	v_pk_mul_f32 v[82:83], v[44:45], s[2:3] op_sel_hi:[0,1]
	v_pk_mul_f32 v[104:105], v[44:45], s[22:23] op_sel_hi:[0,1]
	;; [unrolled: 1-line block ×4, first 2 shown]
	v_pk_add_f32 v[44:45], v[44:45], v[62:63]
	v_pk_mul_f32 v[62:63], v[42:43], s[16:17] op_sel_hi:[0,1]
	v_pk_mul_f32 v[42:43], v[42:43], s[2:3] op_sel_hi:[0,1]
	;; [unrolled: 1-line block ×3, first 2 shown]
	v_pk_add_f32 v[42:43], v[42:43], v[58:59]
	v_pk_mul_f32 v[58:59], v[36:37], s[18:19] op_sel_hi:[0,1]
	v_pk_mul_f32 v[36:37], v[36:37], s[12:13] op_sel_hi:[0,1]
	v_add_f32_e32 v15, v14, v44
	v_pk_mul_f32 v[88:89], v[38:39], s[10:11] op_sel_hi:[0,1]
	v_pk_add_f32 v[36:37], v[36:37], v[60:61]
	v_pk_mul_f32 v[60:61], v[38:39], s[20:21] op_sel_hi:[0,1]
	v_pk_mul_f32 v[38:39], v[38:39], s[6:7] op_sel_hi:[0,1]
	v_add_f32_e32 v15, v42, v15
	v_pk_mul_f32 v[100:101], v[40:41], s[12:13] op_sel_hi:[0,1]
	;; [unrolled: 5-line block ×3, first 2 shown]
	v_pk_add_f32 v[40:41], v[40:41], v[66:67]
	v_pk_mul_f32 v[66:67], v[34:35], s[26:27] op_sel_hi:[0,1]
	v_pk_mul_f32 v[34:35], v[34:35], s[8:9] op_sel_hi:[0,1]
	v_add_f32_e32 v15, v38, v15
	v_pk_add_f32 v[34:35], v[34:35], v[68:69]
	v_add_f32_e32 v15, v40, v15
	v_add_f32_e32 v15, v34, v15
	;; [unrolled: 1-line block ×7, first 2 shown]
	v_pk_add_f32 v[22:23], v[82:83], v[22:23]
	v_add_f32_e32 v68, v35, v34
	v_pk_add_f32 v[34:35], v[104:105], v[46:47]
	v_pk_add_f32 v[24:25], v[84:85], v[24:25]
	v_add_f32_e32 v23, v14, v23
	v_add_f32_e32 v34, v14, v34
	v_add_f32_e32 v23, v25, v23
	v_add_f32_e32 v25, v14, v35
	v_add_f32_e32 v22, v14, v22
	v_add_f32_e32 v14, v14, v91
	v_add_f32_e32 v14, v14, v92
	v_add_f32_e32 v14, v14, v93
	v_add_f32_e32 v14, v14, v94
	v_add_f32_e32 v14, v14, v18
	v_add_f32_e32 v14, v14, v90
	v_add_f32_e32 v14, v14, v95
	v_pk_add_f32 v[36:37], v[62:63], v[48:49]
	v_pk_add_f32 v[26:27], v[86:87], v[26:27]
	v_add_f32_e32 v22, v24, v22
	v_add_f32_e32 v14, v14, v19
	v_pk_add_f32 v[38:39], v[58:59], v[50:51]
	v_add_f32_e32 v34, v36, v34
	v_pk_add_f32 v[28:29], v[88:89], v[28:29]
	v_add_f32_e32 v25, v37, v25
	v_add_f32_e32 v22, v26, v22
	;; [unrolled: 1-line block ×3, first 2 shown]
	v_pk_add_f32 v[40:41], v[60:61], v[52:53]
	v_add_f32_e32 v34, v38, v34
	v_pk_add_f32 v[30:31], v[100:101], v[30:31]
	v_add_f32_e32 v23, v27, v23
	v_add_f32_e32 v25, v39, v25
	;; [unrolled: 1-line block ×4, first 2 shown]
	v_mov_b32_e32 v26, 2
	v_pk_add_f32 v[42:43], v[64:65], v[54:55]
	v_add_f32_e32 v34, v40, v34
	v_pk_add_f32 v[32:33], v[102:103], v[32:33]
	v_add_f32_e32 v23, v29, v23
	v_add_f32_e32 v25, v41, v25
	;; [unrolled: 1-line block ×4, first 2 shown]
	v_mul_u32_u24_e32 v24, 0x208, v3
	v_lshlrev_b32_sdwa v26, v26, v71 dst_sel:DWORD dst_unused:UNUSED_PAD src0_sel:DWORD src1_sel:BYTE_0
	v_pk_add_f32 v[44:45], v[66:67], v[56:57]
	v_add_f32_e32 v34, v42, v34
	v_add_f32_e32 v23, v31, v23
	;; [unrolled: 1-line block ×5, first 2 shown]
	v_add3_u32 v24, 0, v24, v26
	v_add_f32_e32 v34, v44, v34
	v_add_f32_e32 v23, v33, v23
	v_add_f32_e32 v25, v45, v25
	ds_write2_b32 v24, v14, v22 offset1:10
	ds_write2_b32 v24, v25, v23 offset0:20 offset1:30
	ds_write2_b32 v24, v34, v68 offset0:40 offset1:50
	;; [unrolled: 1-line block ×5, first 2 shown]
	ds_write_b32 v24, v10 offset:480
.LBB0_23:
	s_or_b64 exec, exec, s[28:29]
	v_lshl_add_u32 v70, v2, 2, 0
	s_waitcnt lgkmcnt(0)
	s_barrier
	ds_read_b32 v82, v70
	ds_read_b32 v89, v70 offset:1040
	ds_read_b32 v88, v70 offset:2080
	;; [unrolled: 1-line block ×6, first 2 shown]
	s_movk_i32 s2, 0x4e
	v_cmp_gt_u32_e64 s[2:3], s2, v2
                                        ; implicit-def: $vgpr83
	s_and_saveexec_b64 s[6:7], s[2:3]
	s_cbranch_execz .LBB0_25
; %bb.24:
	ds_read_b32 v8, v70 offset:728
	ds_read_b32 v9, v70 offset:1768
	;; [unrolled: 1-line block ×7, first 2 shown]
.LBB0_25:
	s_or_b64 exec, exec, s[6:7]
	v_add_f32_e32 v14, v72, v81
	s_mov_b32 s43, 0x3f62ad3f
	s_mov_b32 s42, 0x3f116cb1
	;; [unrolled: 1-line block ×3, first 2 shown]
	v_sub_f32_e32 v26, v91, v98
	v_add_f32_e32 v60, v73, v80
	v_pk_mul_f32 v[22:23], v[14:15], s[42:43] op_sel_hi:[0,1]
	s_mov_b32 s7, 0xbeedf032
	s_mov_b32 s40, 0xbeb58ec6
	;; [unrolled: 1-line block ×4, first 2 shown]
	v_sub_f32_e32 v30, v92, v97
	v_add_f32_e32 v62, v74, v79
	v_pk_add_f32 v[32:33], v[18:19], v[4:5] neg_lo:[0,1] neg_hi:[0,1]
	v_pk_fma_f32 v[18:19], v[26:27], s[6:7], v[22:23] op_sel_hi:[0,1,1]
	v_pk_mul_f32 v[24:25], v[60:61], s[40:41] op_sel_hi:[0,1]
	s_mov_b32 s8, 0xbf6f5d39
	s_mov_b32 s9, s6
	;; [unrolled: 1-line block ×4, first 2 shown]
	v_sub_f32_e32 v34, v93, v96
	v_add_f32_e32 v64, v75, v78
	v_sub_f32_e32 v36, v94, v21
	v_pk_add_f32 v[68:69], v[16:17], v[20:21]
	v_pk_add_f32 v[18:19], v[6:7], v[18:19] op_sel:[1,0]
	v_pk_fma_f32 v[20:21], v[30:31], s[8:9], v[24:25] op_sel_hi:[0,1,1]
	v_pk_mul_f32 v[28:29], v[62:63], s[44:45] op_sel_hi:[0,1]
	s_mov_b32 s11, 0xbf7e222b
	s_mov_b32 s36, 0xbf3f9e67
	;; [unrolled: 1-line block ×3, first 2 shown]
	v_add_f32_e32 v66, v76, v77
	v_pk_add_f32 v[18:19], v[20:21], v[18:19]
	v_pk_fma_f32 v[20:21], v[34:35], s[10:11], v[28:29] op_sel_hi:[0,1,1]
	v_pk_mul_f32 v[40:41], v[64:65], s[36:37] op_sel_hi:[0,1]
	s_mov_b32 s12, 0x3f29c268
	s_mov_b32 s13, s8
	s_mov_b32 s18, s45
	s_mov_b32 s19, s36
	s_mov_b32 s14, 0x3f7e222b
	v_pk_add_f32 v[18:19], v[20:21], v[18:19]
	v_pk_fma_f32 v[20:21], v[36:37], s[12:13], v[40:41] op_sel_hi:[0,1,1]
	v_pk_mul_f32 v[42:43], v[66:67], s[18:19] op_sel_hi:[0,1]
	s_mov_b32 s15, 0xbf29c268
	s_mov_b32 s24, s43
	;; [unrolled: 1-line block ×3, first 2 shown]
	v_sub_f32_e32 v38, v90, v95
	v_pk_add_f32 v[18:19], v[20:21], v[18:19]
	v_pk_fma_f32 v[20:21], v[32:33], s[14:15], v[42:43] op_sel_hi:[0,1,1]
	v_pk_mul_f32 v[46:47], v[68:69], s[24:25] op_sel_hi:[0,1]
	s_mov_b32 s16, 0x3eedf032
	s_mov_b32 s17, s10
	v_pk_add_f32 v[18:19], v[20:21], v[18:19]
	v_pk_fma_f32 v[20:21], v[38:39], s[16:17], v[46:47] op_sel_hi:[0,1,1]
	v_pk_mul_f32 v[44:45], v[14:15], s[18:19] op_sel_hi:[0,1]
	s_mov_b32 s18, s11
	s_mov_b32 s19, s15
	;; [unrolled: 5-line block ×3, first 2 shown]
	v_pk_add_f32 v[20:21], v[6:7], v[20:21] op_sel:[1,0]
	v_pk_fma_f32 v[50:51], v[30:31], s[20:21], v[48:49] op_sel_hi:[0,1,1]
	v_pk_add_f32 v[20:21], v[50:51], v[20:21]
	v_pk_mul_f32 v[50:51], v[62:63], s[40:41] op_sel_hi:[0,1]
	s_mov_b32 s22, 0x3f6f5d39
	s_mov_b32 s23, s6
	v_pk_fma_f32 v[52:53], v[34:35], s[22:23], v[50:51] op_sel_hi:[0,1,1]
	v_pk_add_f32 v[20:21], v[52:53], v[20:21]
	v_pk_mul_f32 v[52:53], v[64:65], s[24:25] op_sel_hi:[0,1]
	s_mov_b32 s25, 0x3e750f2a
	s_mov_b32 s24, s16
	v_pk_fma_f32 v[54:55], v[36:37], s[24:25], v[52:53] op_sel_hi:[0,1,1]
	v_pk_add_f32 v[20:21], v[54:55], v[20:21]
	v_pk_mul_f32 v[54:55], v[66:67], s[42:43] op_sel_hi:[0,1]
	s_mov_b32 s26, s6
	s_mov_b32 s27, s16
	v_pk_fma_f32 v[56:57], v[32:33], s[26:27], v[54:55] op_sel_hi:[0,1,1]
	v_pk_mul_f32 v[58:59], v[68:69], s[36:37] op_sel_hi:[0,1]
	s_mov_b32 s28, s15
	s_mov_b32 s29, s8
	v_pk_add_f32 v[20:21], v[56:57], v[20:21]
	v_pk_fma_f32 v[56:57], v[38:39], s[28:29], v[58:59] op_sel_hi:[0,1,1]
	s_mov_b32 s30, s44
	s_mov_b32 s31, s40
	v_pk_add_f32 v[20:21], v[56:57], v[20:21]
	v_pk_mul_f32 v[56:57], v[14:15], s[30:31] op_sel_hi:[0,1]
	s_mov_b32 s30, s10
	s_mov_b32 s31, s8
	;; [unrolled: 1-line block ×4, first 2 shown]
	v_pk_fma_f32 v[14:15], v[26:27], s[30:31], v[56:57] op_sel_hi:[0,1,1]
	v_pk_mul_f32 v[60:61], v[60:61], s[34:35] op_sel_hi:[0,1]
	s_mov_b32 s34, s16
	s_mov_b32 s35, s12
	;; [unrolled: 1-line block ×3, first 2 shown]
	v_pk_add_f32 v[14:15], v[6:7], v[14:15] op_sel:[1,0]
	v_pk_fma_f32 v[90:91], v[30:31], s[34:35], v[60:61] op_sel_hi:[0,1,1]
	v_pk_mul_f32 v[62:63], v[62:63], s[36:37] op_sel_hi:[0,1]
	s_mov_b32 s36, s15
	s_mov_b32 s37, s16
	;; [unrolled: 1-line block ×3, first 2 shown]
	v_pk_add_f32 v[14:15], v[90:91], v[14:15]
	v_pk_fma_f32 v[90:91], v[34:35], s[36:37], v[62:63] op_sel_hi:[0,1,1]
	v_pk_mul_f32 v[64:65], v[64:65], s[42:43] op_sel_hi:[0,1]
	s_mov_b32 s39, s11
	s_mov_b32 s41, s44
	v_pk_add_f32 v[14:15], v[90:91], v[14:15]
	v_pk_fma_f32 v[90:91], v[36:37], s[38:39], v[64:65] op_sel_hi:[0,1,1]
	v_pk_mul_f32 v[66:67], v[66:67], s[40:41] op_sel_hi:[0,1]
	s_mov_b32 s40, s8
	s_mov_b32 s41, s25
	s_mov_b32 s44, s45
	s_mov_b32 s45, s42
	v_pk_add_f32 v[14:15], v[90:91], v[14:15]
	v_pk_fma_f32 v[90:91], v[32:33], s[40:41], v[66:67] op_sel_hi:[0,1,1]
	v_pk_mul_f32 v[68:69], v[68:69], s[44:45] op_sel_hi:[0,1]
	s_mov_b32 s42, s14
	s_mov_b32 s43, s38
	v_pk_add_f32 v[14:15], v[90:91], v[14:15]
	v_pk_fma_f32 v[90:91], v[38:39], s[42:43], v[68:69] op_sel_hi:[0,1,1]
	v_pk_add_f32 v[14:15], v[90:91], v[14:15]
	s_waitcnt lgkmcnt(0)
	s_barrier
	s_and_saveexec_b64 s[44:45], vcc
	s_xor_b64 s[44:45], exec, s[44:45]
; %bb.26:
                                        ; implicit-def: $vgpr6_vgpr7
                                        ; implicit-def: $vgpr5
                                        ; implicit-def: $vgpr3
                                        ; implicit-def: $vgpr72
                                        ; implicit-def: $vgpr73
                                        ; implicit-def: $vgpr74
                                        ; implicit-def: $vgpr75
                                        ; implicit-def: $vgpr76
                                        ; implicit-def: $vgpr16_vgpr17
                                        ; implicit-def: $vgpr77
                                        ; implicit-def: $vgpr78
                                        ; implicit-def: $vgpr79
                                        ; implicit-def: $vgpr80
                                        ; implicit-def: $vgpr81
                                        ; implicit-def: $vgpr22_vgpr23
                                        ; implicit-def: $vgpr24_vgpr25
                                        ; implicit-def: $vgpr28_vgpr29
                                        ; implicit-def: $vgpr40_vgpr41
                                        ; implicit-def: $vgpr42_vgpr43
                                        ; implicit-def: $vgpr46_vgpr47
                                        ; implicit-def: $vgpr44_vgpr45
                                        ; implicit-def: $vgpr48_vgpr49
                                        ; implicit-def: $vgpr50_vgpr51
                                        ; implicit-def: $vgpr52_vgpr53
                                        ; implicit-def: $vgpr54_vgpr55
                                        ; implicit-def: $vgpr58_vgpr59
                                        ; implicit-def: $vgpr56_vgpr57
                                        ; implicit-def: $vgpr60_vgpr61
                                        ; implicit-def: $vgpr62_vgpr63
                                        ; implicit-def: $vgpr64_vgpr65
                                        ; implicit-def: $vgpr66_vgpr67
                                        ; implicit-def: $vgpr68_vgpr69
                                        ; implicit-def: $vgpr71
                                        ; implicit-def: $vgpr32_vgpr33
                                        ; implicit-def: $vgpr26_vgpr27
                                        ; implicit-def: $vgpr30_vgpr31
                                        ; implicit-def: $vgpr34_vgpr35
                                        ; implicit-def: $vgpr36_vgpr37
                                        ; implicit-def: $vgpr38_vgpr39
; %bb.27:
	s_andn2_saveexec_b64 s[44:45], s[44:45]
	s_cbranch_execz .LBB0_29
; %bb.28:
	v_add_f32_e32 v4, v5, v72
	v_add_f32_e32 v4, v4, v73
	;; [unrolled: 1-line block ×10, first 2 shown]
	v_pk_mul_f32 v[90:91], v[26:27], s[6:7] op_sel_hi:[0,1]
	v_add_f32_e32 v4, v4, v80
	v_pk_mul_f32 v[92:93], v[30:31], s[8:9] op_sel_hi:[0,1]
	v_add_f32_e32 v6, v4, v81
	v_pk_add_f32 v[4:5], v[22:23], v[90:91] neg_lo:[0,1] neg_hi:[0,1]
	v_pk_mul_f32 v[94:95], v[34:35], s[10:11] op_sel_hi:[0,1]
	v_pk_add_f32 v[16:17], v[24:25], v[92:93] neg_lo:[0,1] neg_hi:[0,1]
	v_add_f32_e32 v5, v7, v5
	v_add_f32_e32 v4, v7, v4
	v_pk_mul_f32 v[96:97], v[36:37], s[12:13] op_sel_hi:[0,1]
	v_pk_add_f32 v[22:23], v[28:29], v[94:95] neg_lo:[0,1] neg_hi:[0,1]
	v_add_f32_e32 v5, v17, v5
	v_add_f32_e32 v4, v16, v4
	v_pk_mul_f32 v[98:99], v[32:33], s[14:15] op_sel_hi:[0,1]
	v_pk_add_f32 v[24:25], v[40:41], v[96:97] neg_lo:[0,1] neg_hi:[0,1]
	v_add_f32_e32 v5, v23, v5
	v_add_f32_e32 v4, v22, v4
	v_pk_mul_f32 v[100:101], v[38:39], s[16:17] op_sel_hi:[0,1]
	v_pk_add_f32 v[28:29], v[42:43], v[98:99] neg_lo:[0,1] neg_hi:[0,1]
	v_add_f32_e32 v5, v25, v5
	v_add_f32_e32 v4, v24, v4
	v_pk_mul_f32 v[102:103], v[26:27], s[18:19] op_sel_hi:[0,1]
	v_pk_add_f32 v[40:41], v[46:47], v[100:101] neg_lo:[0,1] neg_hi:[0,1]
	v_add_f32_e32 v5, v29, v5
	v_add_f32_e32 v4, v28, v4
	v_pk_mul_f32 v[104:105], v[30:31], s[20:21] op_sel_hi:[0,1]
	v_add_f32_e32 v42, v41, v5
	v_add_f32_e32 v43, v40, v4
	v_pk_add_f32 v[4:5], v[44:45], v[102:103] neg_lo:[0,1] neg_hi:[0,1]
	v_pk_mul_f32 v[106:107], v[34:35], s[22:23] op_sel_hi:[0,1]
	v_pk_add_f32 v[16:17], v[48:49], v[104:105] neg_lo:[0,1] neg_hi:[0,1]
	v_add_f32_e32 v4, v7, v4
	v_pk_mul_f32 v[108:109], v[36:37], s[24:25] op_sel_hi:[0,1]
	v_pk_add_f32 v[22:23], v[50:51], v[106:107] neg_lo:[0,1] neg_hi:[0,1]
	v_add_f32_e32 v4, v16, v4
	;; [unrolled: 3-line block ×4, first 2 shown]
	v_pk_add_f32 v[40:41], v[58:59], v[112:113] neg_lo:[0,1] neg_hi:[0,1]
	v_add_f32_e32 v4, v28, v4
	v_add_f32_e32 v40, v40, v4
	;; [unrolled: 1-line block ×6, first 2 shown]
	v_pk_mul_f32 v[26:27], v[26:27], s[30:31] op_sel_hi:[0,1]
	v_add_f32_e32 v4, v29, v4
	v_pk_mul_f32 v[30:31], v[30:31], s[34:35] op_sel_hi:[0,1]
	v_add_f32_e32 v41, v41, v4
	v_pk_add_f32 v[4:5], v[56:57], v[26:27] neg_lo:[0,1] neg_hi:[0,1]
	v_pk_mul_f32 v[34:35], v[34:35], s[36:37] op_sel_hi:[0,1]
	v_pk_add_f32 v[16:17], v[60:61], v[30:31] neg_lo:[0,1] neg_hi:[0,1]
	v_add_f32_e32 v5, v7, v5
	v_add_f32_e32 v4, v7, v4
	v_pk_mul_f32 v[36:37], v[36:37], s[38:39] op_sel_hi:[0,1]
	v_pk_add_f32 v[22:23], v[62:63], v[34:35] neg_lo:[0,1] neg_hi:[0,1]
	v_add_f32_e32 v5, v17, v5
	v_add_f32_e32 v4, v16, v4
	;; [unrolled: 4-line block ×3, first 2 shown]
	v_mov_b32_e32 v7, 2
	v_pk_mul_f32 v[38:39], v[38:39], s[42:43] op_sel_hi:[0,1]
	v_pk_add_f32 v[26:27], v[66:67], v[32:33] neg_lo:[0,1] neg_hi:[0,1]
	v_add_f32_e32 v5, v25, v5
	v_add_f32_e32 v4, v24, v4
	v_mul_u32_u24_e32 v3, 0x208, v3
	v_lshlrev_b32_sdwa v7, v7, v71 dst_sel:DWORD dst_unused:UNUSED_PAD src0_sel:DWORD src1_sel:BYTE_0
	v_pk_add_f32 v[28:29], v[68:69], v[38:39] neg_lo:[0,1] neg_hi:[0,1]
	v_add_f32_e32 v5, v27, v5
	v_add_f32_e32 v4, v26, v4
	v_add3_u32 v3, 0, v3, v7
	v_add_f32_e32 v5, v29, v5
	v_add_f32_e32 v4, v28, v4
	ds_write2_b32 v3, v6, v42 offset1:10
	ds_write2_b32 v3, v43, v40 offset0:20 offset1:30
	ds_write2_b32 v3, v5, v41 offset0:40 offset1:50
	;; [unrolled: 1-line block ×5, first 2 shown]
	ds_write_b32 v3, v19 offset:480
.LBB0_29:
	s_or_b64 exec, exec, s[44:45]
	s_waitcnt lgkmcnt(0)
	s_barrier
	ds_read_b32 v3, v70
	ds_read_b32 v25, v70 offset:1040
	ds_read_b32 v24, v70 offset:2080
	;; [unrolled: 1-line block ×6, first 2 shown]
                                        ; implicit-def: $vgpr4
	s_and_saveexec_b64 s[6:7], s[2:3]
	s_cbranch_execz .LBB0_31
; %bb.30:
	ds_read_b32 v14, v70 offset:728
	ds_read_b32 v21, v70 offset:1768
	;; [unrolled: 1-line block ×7, first 2 shown]
.LBB0_31:
	s_or_b64 exec, exec, s[6:7]
	s_movk_i32 s6, 0x82
	v_add_u32_e32 v5, 0xffffff7e, v2
	v_cmp_gt_u32_e32 vcc, s6, v2
	v_mov_b32_e32 v7, 0
	s_movk_i32 s6, 0xfc1
	v_cndmask_b32_e32 v26, v5, v2, vcc
	v_mul_i32_i24_e32 v6, 6, v26
	v_lshl_add_u64 v[6:7], v[6:7], 3, s[4:5]
	v_add_u32_e32 v5, 0xb6, v2
	global_load_dwordx4 v[32:35], v[6:7], off offset:960
	global_load_dwordx4 v[36:39], v[6:7], off offset:976
	;; [unrolled: 1-line block ×3, first 2 shown]
	v_mul_u32_u24_sdwa v6, v5, s6 dst_sel:DWORD dst_unused:UNUSED_PAD src0_sel:WORD_0 src1_sel:DWORD
	v_lshrrev_b32_e32 v6, 19, v6
	v_mul_lo_u16_e32 v6, 0x82, v6
	v_sub_u16_e32 v56, v5, v6
	v_mul_u32_u24_e32 v5, 6, v56
	v_lshlrev_b32_e32 v5, 3, v5
	global_load_dwordx4 v[44:47], v5, s[4:5] offset:960
	global_load_dwordx4 v[48:51], v5, s[4:5] offset:976
	;; [unrolled: 1-line block ×3, first 2 shown]
	s_mov_b32 s8, 0xbf5ff5aa
	s_mov_b32 s10, 0xbf3bfb3b
	;; [unrolled: 1-line block ×4, first 2 shown]
	s_movk_i32 s6, 0x81
	v_cmp_lt_u32_e32 vcc, s6, v2
	v_lshlrev_b32_e32 v26, 2, v26
	s_waitcnt lgkmcnt(0)
	s_barrier
	s_waitcnt vmcnt(5)
	v_mul_f32_e32 v5, v25, v33
	v_mul_f32_e32 v6, v24, v35
	s_waitcnt vmcnt(3)
	v_mul_f32_e32 v29, v17, v41
	v_mul_f32_e32 v30, v16, v43
	;; [unrolled: 1-line block ×9, first 2 shown]
	v_fmac_f32_e32 v5, v89, v32
	v_fmac_f32_e32 v6, v88, v34
	;; [unrolled: 1-line block ×4, first 2 shown]
	v_mul_f32_e32 v41, v84, v43
	v_fma_f32 v31, v25, v32, -v27
	v_fma_f32 v32, v24, v34, -v33
	v_fmac_f32_e32 v7, v87, v36
	v_fma_f32 v33, v23, v36, -v35
	v_fmac_f32_e32 v28, v86, v38
	v_fma_f32 v34, v22, v38, -v37
	v_fma_f32 v35, v17, v40, -v39
	v_add_f32_e32 v27, v5, v30
	v_add_f32_e32 v38, v6, v29
	v_fma_f32 v36, v16, v42, -v41
	v_sub_f32_e32 v39, v32, v35
	v_add_f32_e32 v40, v7, v28
	v_sub_f32_e32 v41, v34, v33
	s_waitcnt vmcnt(2)
	v_mul_f32_e32 v16, v21, v45
	v_mul_f32_e32 v42, v9, v45
	;; [unrolled: 1-line block ×4, first 2 shown]
	s_waitcnt vmcnt(1)
	v_mul_f32_e32 v22, v20, v49
	v_mul_f32_e32 v45, v11, v49
	;; [unrolled: 1-line block ×4, first 2 shown]
	s_waitcnt vmcnt(0)
	v_mul_f32_e32 v24, v19, v53
	v_mul_f32_e32 v49, v10, v53
	;; [unrolled: 1-line block ×3, first 2 shown]
	v_add_f32_e32 v53, v38, v27
	v_sub_f32_e32 v37, v31, v36
	v_mul_f32_e32 v25, v4, v55
	v_sub_f32_e32 v55, v38, v27
	v_sub_f32_e32 v57, v27, v40
	;; [unrolled: 1-line block ×3, first 2 shown]
	v_fma_f32 v27, v4, v54, -v51
	v_add_f32_e32 v4, v40, v53
	v_sub_f32_e32 v38, v40, v38
	v_add_f32_e32 v58, v41, v39
	v_sub_f32_e32 v41, v37, v41
	v_sub_f32_e32 v39, v39, v37
	v_fmac_f32_e32 v17, v12, v46
	v_fmac_f32_e32 v23, v13, v50
	;; [unrolled: 1-line block ×3, first 2 shown]
	v_mul_f32_e32 v10, 0x3f4a47b2, v57
	v_mul_f32_e32 v12, 0x3f08b237, v59
	v_add_f32_e32 v13, v82, v4
	v_fmac_f32_e32 v16, v9, v44
	v_fmac_f32_e32 v22, v11, v48
	v_add_f32_e32 v9, v58, v37
	v_mul_f32_e32 v11, 0x3d64c772, v38
	v_mul_f32_e32 v37, 0xbf5ff5aa, v39
	v_fmamk_f32 v4, v4, 0xbf955555, v13
	v_fma_f32 v40, v55, s10, -v10
	v_fmac_f32_e32 v10, 0x3d64c772, v38
	v_fma_f32 v38, v39, s8, -v12
	v_fmac_f32_e32 v12, 0xbeae86e6, v41
	v_fma_f32 v37, v41, s11, -v37
	v_add_f32_e32 v10, v10, v4
	v_fmac_f32_e32 v12, 0xbee1c552, v9
	v_fma_f32 v11, v55, s9, -v11
	v_fmac_f32_e32 v38, 0xbee1c552, v9
	v_fmac_f32_e32 v37, 0xbee1c552, v9
	v_add_f32_e32 v9, v12, v10
	v_sub_f32_e32 v10, v10, v12
	v_mov_b32_e32 v12, 0xe38
	v_add_f32_e32 v11, v11, v4
	v_add_f32_e32 v4, v40, v4
	v_cndmask_b32_e32 v12, 0, v12, vcc
	v_add_f32_e32 v39, v37, v4
	v_sub_f32_e32 v4, v4, v37
	v_add3_u32 v37, 0, v12, v26
	v_sub_f32_e32 v40, v11, v38
	v_add_f32_e32 v11, v38, v11
	v_add_u32_e32 v38, 0x400, v37
	v_fma_f32 v21, v21, v44, -v42
	v_fma_f32 v15, v15, v46, -v43
	;; [unrolled: 1-line block ×5, first 2 shown]
	v_fmac_f32_e32 v25, v83, v54
	ds_write2_b32 v38, v39, v40 offset0:4 offset1:134
	v_add_u32_e32 v39, 0x800, v37
	v_lshl_add_u32 v26, v56, 2, 0
	ds_write2_b32 v37, v13, v9 offset1:130
	ds_write2_b32 v39, v11, v4 offset0:8 offset1:138
	ds_write_b32 v37, v10 offset:3120
	s_and_saveexec_b64 s[6:7], s[2:3]
	s_cbranch_execz .LBB0_33
; %bb.32:
	v_add_f32_e32 v4, v16, v25
	v_add_f32_e32 v11, v17, v24
	;; [unrolled: 1-line block ×4, first 2 shown]
	v_sub_f32_e32 v41, v18, v20
	v_sub_f32_e32 v43, v15, v19
	;; [unrolled: 1-line block ×4, first 2 shown]
	v_add_f32_e32 v9, v9, v40
	v_sub_f32_e32 v40, v21, v27
	v_sub_f32_e32 v44, v41, v43
	v_mul_f32_e32 v10, 0x3f4a47b2, v10
	v_mul_f32_e32 v13, 0x3d64c772, v12
	v_add_f32_e32 v8, v8, v9
	v_sub_f32_e32 v42, v40, v41
	v_mul_f32_e32 v44, 0x3f08b237, v44
	v_add_f32_e32 v41, v41, v43
	v_sub_f32_e32 v4, v11, v4
	v_sub_f32_e32 v11, v43, v40
	v_fmamk_f32 v12, v12, 0x3d64c772, v10
	v_fmamk_f32 v9, v9, 0xbf955555, v8
	;; [unrolled: 1-line block ×3, first 2 shown]
	v_add_f32_e32 v41, v41, v40
	v_fma_f32 v10, v4, s10, -v10
	v_mul_f32_e32 v40, 0xbf5ff5aa, v11
	v_fma_f32 v11, v11, s8, -v44
	v_fma_f32 v4, v4, s9, -v13
	v_add_f32_e32 v12, v12, v9
	v_fmac_f32_e32 v45, 0xbee1c552, v41
	v_fma_f32 v40, v42, s11, -v40
	v_fmac_f32_e32 v11, 0xbee1c552, v41
	v_add_f32_e32 v4, v4, v9
	v_sub_f32_e32 v46, v12, v45
	v_add_f32_e32 v10, v10, v9
	v_fmac_f32_e32 v40, 0xbee1c552, v41
	v_add_f32_e32 v9, v11, v4
	v_sub_f32_e32 v4, v4, v11
	v_add_f32_e32 v11, v45, v12
	v_add_u32_e32 v12, 0xe00, v26
	v_sub_f32_e32 v42, v10, v40
	v_add_f32_e32 v10, v40, v10
	ds_write2_b32 v12, v8, v11 offset0:14 offset1:144
	v_add_u32_e32 v8, 0x1200, v26
	ds_write2_b32 v8, v10, v4 offset0:18 offset1:148
	v_add_u32_e32 v4, 0x1600, v26
	ds_write2_b32 v4, v9, v42 offset0:22 offset1:152
	ds_write_b32 v26, v46 offset:6760
.LBB0_33:
	s_or_b64 exec, exec, s[6:7]
	v_add_f32_e32 v4, v31, v36
	v_add_f32_e32 v8, v32, v35
	v_sub_f32_e32 v6, v6, v29
	v_add_f32_e32 v9, v33, v34
	v_sub_f32_e32 v7, v28, v7
	v_add_f32_e32 v10, v8, v4
	v_sub_f32_e32 v5, v5, v30
	v_sub_f32_e32 v11, v8, v4
	v_sub_f32_e32 v4, v4, v9
	;; [unrolled: 1-line block ×3, first 2 shown]
	v_add_f32_e32 v12, v7, v6
	v_sub_f32_e32 v13, v7, v6
	v_add_f32_e32 v9, v9, v10
	v_sub_f32_e32 v7, v5, v7
	v_sub_f32_e32 v6, v6, v5
	v_add_f32_e32 v5, v12, v5
	v_add_f32_e32 v3, v3, v9
	v_mul_f32_e32 v10, 0x3d64c772, v8
	v_mul_f32_e32 v12, 0x3f08b237, v13
	;; [unrolled: 1-line block ×4, first 2 shown]
	v_fmamk_f32 v9, v9, 0xbf955555, v3
	v_fma_f32 v10, v11, s9, -v10
	v_fma_f32 v6, v6, s8, -v12
	;; [unrolled: 1-line block ×3, first 2 shown]
	v_fmac_f32_e32 v4, 0x3d64c772, v8
	v_add_f32_e32 v8, v10, v9
	v_fmac_f32_e32 v6, 0xbee1c552, v5
	v_fmac_f32_e32 v12, 0xbeae86e6, v7
	v_fma_f32 v7, v7, s11, -v13
	v_add_f32_e32 v30, v6, v8
	v_sub_f32_e32 v31, v8, v6
	v_add_u32_e32 v6, 0x1000, v70
	v_add_f32_e32 v4, v4, v9
	v_add_f32_e32 v9, v11, v9
	v_fmac_f32_e32 v12, 0xbee1c552, v5
	v_fmac_f32_e32 v7, 0xbee1c552, v5
	s_waitcnt lgkmcnt(0)
	s_barrier
	ds_read2_b32 v[10:11], v6 offset0:68 offset1:250
	v_add_u32_e32 v6, 0x500, v70
	v_sub_f32_e32 v28, v4, v12
	v_sub_f32_e32 v29, v9, v7
	v_add_f32_e32 v32, v7, v9
	v_add_f32_e32 v33, v12, v4
	v_add_u32_e32 v4, 0xb00, v70
	ds_read2_b32 v[8:9], v6 offset0:44 offset1:226
	v_add_u32_e32 v6, 0x1600, v70
	ds_read2_b32 v[12:13], v70 offset1:182
	ds_read2_b32 v[4:5], v4 offset0:24 offset1:206
	ds_read2_b32 v[6:7], v6 offset0:48 offset1:230
	s_waitcnt lgkmcnt(0)
	s_barrier
	ds_write2_b32 v37, v3, v28 offset1:130
	ds_write2_b32 v38, v29, v30 offset0:4 offset1:134
	ds_write2_b32 v39, v31, v32 offset0:8 offset1:138
	ds_write_b32 v37, v33 offset:3120
	s_and_saveexec_b64 s[6:7], s[2:3]
	s_cbranch_execz .LBB0_35
; %bb.34:
	v_add_f32_e32 v3, v21, v27
	v_add_f32_e32 v15, v15, v19
	;; [unrolled: 1-line block ×3, first 2 shown]
	v_sub_f32_e32 v17, v17, v24
	v_sub_f32_e32 v19, v23, v22
	v_add_f32_e32 v20, v15, v3
	v_sub_f32_e32 v21, v15, v3
	v_sub_f32_e32 v15, v18, v15
	;; [unrolled: 1-line block ×4, first 2 shown]
	v_add_f32_e32 v22, v19, v17
	v_sub_f32_e32 v23, v19, v17
	v_add_f32_e32 v18, v18, v20
	v_mul_f32_e32 v20, 0x3d64c772, v15
	s_mov_b32 s3, 0x3f3bfb3b
	v_sub_f32_e32 v19, v16, v19
	v_sub_f32_e32 v17, v17, v16
	v_add_f32_e32 v16, v22, v16
	v_add_f32_e32 v14, v14, v18
	v_mul_f32_e32 v3, 0x3f4a47b2, v3
	v_mul_f32_e32 v22, 0x3f08b237, v23
	s_mov_b32 s2, 0xbf5ff5aa
	v_fma_f32 v20, v21, s3, -v20
	s_mov_b32 s3, 0xbf3bfb3b
	v_mul_f32_e32 v23, 0xbf5ff5aa, v17
	v_fmamk_f32 v18, v18, 0xbf955555, v14
	v_fma_f32 v21, v21, s3, -v3
	v_fmac_f32_e32 v3, 0x3d64c772, v15
	v_fmamk_f32 v15, v19, 0xbeae86e6, v22
	v_fma_f32 v17, v17, s2, -v22
	s_mov_b32 s2, 0x3eae86e6
	v_fma_f32 v19, v19, s2, -v23
	v_add_f32_e32 v3, v3, v18
	v_fmac_f32_e32 v15, 0xbee1c552, v16
	v_add_f32_e32 v20, v20, v18
	v_add_f32_e32 v18, v21, v18
	v_fmac_f32_e32 v17, 0xbee1c552, v16
	v_fmac_f32_e32 v19, 0xbee1c552, v16
	v_sub_f32_e32 v16, v3, v15
	v_add_f32_e32 v3, v15, v3
	v_add_u32_e32 v15, 0xe00, v26
	v_sub_f32_e32 v21, v18, v19
	v_add_f32_e32 v22, v17, v20
	ds_write2_b32 v15, v14, v16 offset0:14 offset1:144
	v_add_u32_e32 v14, 0x1200, v26
	v_sub_f32_e32 v17, v20, v17
	v_add_f32_e32 v18, v19, v18
	ds_write2_b32 v14, v21, v22 offset0:18 offset1:148
	v_add_u32_e32 v14, 0x1600, v26
	ds_write2_b32 v14, v17, v18 offset0:22 offset1:152
	ds_write_b32 v26, v3 offset:6760
.LBB0_35:
	s_or_b64 exec, exec, s[6:7]
	s_waitcnt lgkmcnt(0)
	s_barrier
	s_and_saveexec_b64 s[2:3], s[0:1]
	s_cbranch_execz .LBB0_37
; %bb.36:
	v_mov_b32_e32 v15, 0
	v_mov_b32_e32 v3, v15
	v_lshlrev_b64 v[16:17], 3, v[2:3]
	s_movk_i32 s0, 0x1000
	v_lshl_add_u64 v[18:19], s[4:5], 0, v[16:17]
	v_add_co_u32_e32 v20, vcc, s0, v18
	s_movk_i32 s1, 0x2000
	s_nop 0
	v_addc_co_u32_e32 v21, vcc, 0, v19, vcc
	v_add_co_u32_e32 v18, vcc, s1, v18
	v_add_u32_e32 v14, 0x2d8, v2
	s_nop 0
	v_addc_co_u32_e32 v19, vcc, 0, v19, vcc
	global_load_dwordx2 v[22:23], v[20:21], off offset:3104
	global_load_dwordx2 v[24:25], v[18:19], off offset:464
	;; [unrolled: 1-line block ×3, first 2 shown]
	v_add_u32_e32 v18, 0x222, v2
	v_mov_b32_e32 v19, v15
	v_lshl_add_u64 v[20:21], v[18:19], 3, s[4:5]
	v_add_co_u32_e32 v20, vcc, s0, v20
	v_lshl_add_u64 v[34:35], v[14:15], 3, s[4:5]
	s_nop 0
	v_addc_co_u32_e32 v21, vcc, 0, v21, vcc
	global_load_dwordx2 v[20:21], v[20:21], off offset:3104
	v_add_co_u32_e32 v34, vcc, s0, v34
	v_add_u32_e32 v3, 0xb00, v70
	s_nop 0
	v_addc_co_u32_e32 v35, vcc, 0, v35, vcc
	global_load_dwordx2 v[34:35], v[34:35], off offset:3104
	v_add_u32_e32 v19, 0x1600, v70
	v_add_u32_e32 v31, 0x500, v70
	;; [unrolled: 1-line block ×3, first 2 shown]
	ds_read2_b32 v[28:29], v70 offset1:182
	ds_read2_b32 v[38:39], v3 offset0:24 offset1:206
	ds_read2_b32 v[40:41], v19 offset0:48 offset1:230
	;; [unrolled: 1-line block ×4, first 2 shown]
	v_mov_b32_e32 v30, v12
	v_mov_b32_e32 v12, v5
	;; [unrolled: 1-line block ×3, first 2 shown]
	v_add_u32_e32 v5, 0x16c, v2
	s_mov_b32 s2, 0x90090091
	v_lshrrev_b32_e32 v3, 1, v5
	v_mul_hi_u32 v3, v3, s2
	v_lshrrev_b32_e32 v3, 8, v3
	v_mul_u32_u24_e32 v46, 0x38e, v3
	s_waitcnt lgkmcnt(3)
	v_mov_b32_e32 v52, v39
	s_waitcnt lgkmcnt(1)
	v_mov_b32_e32 v3, v42
	;; [unrolled: 2-line block ×3, first 2 shown]
	v_mov_b32_e32 v2, v8
	v_mov_b32_e32 v8, v11
	;; [unrolled: 1-line block ×3, first 2 shown]
	v_lshl_add_u64 v[16:17], v[0:1], 0, v[16:17]
	v_add_co_u32_e32 v48, vcc, s0, v16
	v_mov_b32_e32 v31, v28
	v_mov_b32_e32 v28, v13
	v_addc_co_u32_e32 v49, vcc, 0, v17, vcc
	v_mov_b32_e32 v47, v15
	v_add_co_u32_e32 v50, vcc, s1, v16
	v_lshl_add_u64 v[46:47], v[46:47], 3, v[16:17]
	s_nop 0
	v_addc_co_u32_e32 v51, vcc, 0, v17, vcc
	s_movk_i32 s3, 0x38e
	v_mov_b32_e32 v5, v38
	s_waitcnt vmcnt(4)
	v_pk_mul_f32 v[52:53], v[52:53], v[22:23] op_sel_hi:[0,1]
	s_waitcnt vmcnt(3)
	v_pk_mul_f32 v[44:45], v[44:45], v[24:25] op_sel_hi:[0,1]
	s_waitcnt vmcnt(2)
	v_pk_mul_f32 v[54:55], v[42:43], v[26:27] op_sel_hi:[0,1]
	v_pk_fma_f32 v[12:13], v[12:13], v[22:23], v[52:53] op_sel:[0,0,1] op_sel_hi:[1,1,0]
	v_pk_fma_f32 v[22:23], v[32:33], v[22:23], v[52:53] op_sel:[0,0,1] op_sel_hi:[0,1,0] neg_lo:[1,0,0] neg_hi:[1,0,0]
	v_pk_fma_f32 v[32:33], v[10:11], v[24:25], v[44:45] op_sel:[0,0,1] op_sel_hi:[1,1,0]
	v_pk_fma_f32 v[10:11], v[10:11], v[24:25], v[44:45] op_sel:[0,0,1] op_sel_hi:[0,1,0] neg_lo:[1,0,0] neg_hi:[1,0,0]
	v_pk_fma_f32 v[24:25], v[8:9], v[26:27], v[54:55] op_sel:[0,0,1] op_sel_hi:[1,1,0]
	v_pk_fma_f32 v[26:27], v[36:37], v[26:27], v[54:55] op_sel:[0,0,1] op_sel_hi:[0,1,0] neg_lo:[1,0,0] neg_hi:[1,0,0]
	v_mov_b32_e32 v25, v27
	v_mov_b32_e32 v13, v23
	;; [unrolled: 1-line block ×3, first 2 shown]
	v_pk_add_f32 v[22:23], v[2:3], v[24:25] neg_lo:[0,1] neg_hi:[0,1]
	v_pk_add_f32 v[10:11], v[30:31], v[12:13] neg_lo:[0,1] neg_hi:[0,1]
	;; [unrolled: 1-line block ×3, first 2 shown]
	v_pk_fma_f32 v[2:3], v[2:3], 2.0, v[22:23] op_sel_hi:[1,0,1] neg_lo:[0,0,1] neg_hi:[0,0,1]
	v_pk_fma_f32 v[24:25], v[30:31], 2.0, v[10:11] op_sel_hi:[1,0,1] neg_lo:[0,0,1] neg_hi:[0,0,1]
	global_store_dwordx2 v[48:49], v[10:11], off offset:3184
	v_pk_fma_f32 v[10:11], v[28:29], 2.0, v[12:13] op_sel_hi:[1,0,1] neg_lo:[0,0,1] neg_hi:[0,0,1]
	global_store_dwordx2 v[50:51], v[12:13], off offset:544
	global_store_dwordx2 v[16:17], v[24:25], off
	global_store_dwordx2 v[16:17], v[10:11], off offset:1456
	global_store_dwordx2 v[46:47], v[2:3], off offset:2912
	v_add_co_u32_e32 v2, vcc, s1, v46
	v_mov_b32_e32 v42, v9
	s_nop 0
	v_addc_co_u32_e32 v3, vcc, 0, v47, vcc
	global_store_dwordx2 v[2:3], v[22:23], off offset:2000
	v_lshrrev_b32_e32 v2, 1, v18
	s_waitcnt vmcnt(7)
	v_pk_mul_f32 v[8:9], v[40:41], v[20:21] op_sel_hi:[0,1]
	v_mul_hi_u32 v2, v2, s2
	v_pk_fma_f32 v[10:11], v[6:7], v[20:21], v[8:9] op_sel:[0,0,1] op_sel_hi:[1,1,0]
	v_pk_fma_f32 v[8:9], v[6:7], v[20:21], v[8:9] op_sel:[0,0,1] op_sel_hi:[0,1,0] neg_lo:[1,0,0] neg_hi:[1,0,0]
	v_lshrrev_b32_e32 v2, 8, v2
	v_mov_b32_e32 v11, v9
	v_mad_u32_u24 v2, v2, s3, v18
	v_mov_b32_e32 v3, v15
	v_pk_add_f32 v[8:9], v[42:43], v[10:11] neg_lo:[0,1] neg_hi:[0,1]
	v_lshl_add_u64 v[2:3], v[2:3], 3, v[0:1]
	v_pk_fma_f32 v[10:11], v[42:43], 2.0, v[8:9] op_sel_hi:[1,0,1] neg_lo:[0,0,1] neg_hi:[0,0,1]
	global_store_dwordx2 v[2:3], v[10:11], off
	v_add_co_u32_e32 v2, vcc, s0, v2
	v_mov_b32_e32 v6, v7
	s_nop 0
	v_addc_co_u32_e32 v3, vcc, 0, v3, vcc
	global_store_dwordx2 v[2:3], v[8:9], off offset:3184
	v_lshrrev_b32_e32 v2, 1, v14
	v_mul_hi_u32 v2, v2, s2
	v_lshrrev_b32_e32 v2, 8, v2
	v_mad_u32_u24 v14, v2, s3, v14
	v_mov_b32_e32 v2, v41
	s_waitcnt vmcnt(8)
	v_pk_mul_f32 v[2:3], v[2:3], v[34:35] op_sel_hi:[0,1]
	v_pk_fma_f32 v[8:9], v[6:7], v[34:35], v[2:3] op_sel:[0,0,1] op_sel_hi:[1,1,0]
	v_pk_fma_f32 v[2:3], v[6:7], v[34:35], v[2:3] op_sel:[0,0,1] op_sel_hi:[0,1,0] neg_lo:[1,0,0] neg_hi:[1,0,0]
	v_mov_b32_e32 v9, v3
	v_pk_add_f32 v[2:3], v[4:5], v[8:9] neg_lo:[0,1] neg_hi:[0,1]
	v_lshl_add_u64 v[0:1], v[14:15], 3, v[0:1]
	v_pk_fma_f32 v[4:5], v[4:5], 2.0, v[2:3] op_sel_hi:[1,0,1] neg_lo:[0,0,1] neg_hi:[0,0,1]
	global_store_dwordx2 v[0:1], v[4:5], off
	v_add_co_u32_e32 v0, vcc, 0x1000, v0
	s_nop 1
	v_addc_co_u32_e32 v1, vcc, 0, v1, vcc
	global_store_dwordx2 v[0:1], v[2:3], off offset:3184
.LBB0_37:
	s_endpgm
	.section	.rodata,"a",@progbits
	.p2align	6, 0x0
	.amdhsa_kernel fft_rtc_back_len1820_factors_10_13_7_2_wgs_182_tpt_182_halfLds_sp_ip_CI_unitstride_sbrr_dirReg
		.amdhsa_group_segment_fixed_size 0
		.amdhsa_private_segment_fixed_size 0
		.amdhsa_kernarg_size 88
		.amdhsa_user_sgpr_count 2
		.amdhsa_user_sgpr_dispatch_ptr 0
		.amdhsa_user_sgpr_queue_ptr 0
		.amdhsa_user_sgpr_kernarg_segment_ptr 1
		.amdhsa_user_sgpr_dispatch_id 0
		.amdhsa_user_sgpr_kernarg_preload_length 0
		.amdhsa_user_sgpr_kernarg_preload_offset 0
		.amdhsa_user_sgpr_private_segment_size 0
		.amdhsa_uses_dynamic_stack 0
		.amdhsa_enable_private_segment 0
		.amdhsa_system_sgpr_workgroup_id_x 1
		.amdhsa_system_sgpr_workgroup_id_y 0
		.amdhsa_system_sgpr_workgroup_id_z 0
		.amdhsa_system_sgpr_workgroup_info 0
		.amdhsa_system_vgpr_workitem_id 0
		.amdhsa_next_free_vgpr 114
		.amdhsa_next_free_sgpr 46
		.amdhsa_accum_offset 116
		.amdhsa_reserve_vcc 1
		.amdhsa_float_round_mode_32 0
		.amdhsa_float_round_mode_16_64 0
		.amdhsa_float_denorm_mode_32 3
		.amdhsa_float_denorm_mode_16_64 3
		.amdhsa_dx10_clamp 1
		.amdhsa_ieee_mode 1
		.amdhsa_fp16_overflow 0
		.amdhsa_tg_split 0
		.amdhsa_exception_fp_ieee_invalid_op 0
		.amdhsa_exception_fp_denorm_src 0
		.amdhsa_exception_fp_ieee_div_zero 0
		.amdhsa_exception_fp_ieee_overflow 0
		.amdhsa_exception_fp_ieee_underflow 0
		.amdhsa_exception_fp_ieee_inexact 0
		.amdhsa_exception_int_div_zero 0
	.end_amdhsa_kernel
	.text
.Lfunc_end0:
	.size	fft_rtc_back_len1820_factors_10_13_7_2_wgs_182_tpt_182_halfLds_sp_ip_CI_unitstride_sbrr_dirReg, .Lfunc_end0-fft_rtc_back_len1820_factors_10_13_7_2_wgs_182_tpt_182_halfLds_sp_ip_CI_unitstride_sbrr_dirReg
                                        ; -- End function
	.section	.AMDGPU.csdata,"",@progbits
; Kernel info:
; codeLenInByte = 9096
; NumSgprs: 52
; NumVgprs: 114
; NumAgprs: 0
; TotalNumVgprs: 114
; ScratchSize: 0
; MemoryBound: 0
; FloatMode: 240
; IeeeMode: 1
; LDSByteSize: 0 bytes/workgroup (compile time only)
; SGPRBlocks: 6
; VGPRBlocks: 14
; NumSGPRsForWavesPerEU: 52
; NumVGPRsForWavesPerEU: 114
; AccumOffset: 116
; Occupancy: 4
; WaveLimiterHint : 1
; COMPUTE_PGM_RSRC2:SCRATCH_EN: 0
; COMPUTE_PGM_RSRC2:USER_SGPR: 2
; COMPUTE_PGM_RSRC2:TRAP_HANDLER: 0
; COMPUTE_PGM_RSRC2:TGID_X_EN: 1
; COMPUTE_PGM_RSRC2:TGID_Y_EN: 0
; COMPUTE_PGM_RSRC2:TGID_Z_EN: 0
; COMPUTE_PGM_RSRC2:TIDIG_COMP_CNT: 0
; COMPUTE_PGM_RSRC3_GFX90A:ACCUM_OFFSET: 28
; COMPUTE_PGM_RSRC3_GFX90A:TG_SPLIT: 0
	.text
	.p2alignl 6, 3212836864
	.fill 256, 4, 3212836864
	.type	__hip_cuid_54c22d895f392b46,@object ; @__hip_cuid_54c22d895f392b46
	.section	.bss,"aw",@nobits
	.globl	__hip_cuid_54c22d895f392b46
__hip_cuid_54c22d895f392b46:
	.byte	0                               ; 0x0
	.size	__hip_cuid_54c22d895f392b46, 1

	.ident	"AMD clang version 19.0.0git (https://github.com/RadeonOpenCompute/llvm-project roc-6.4.0 25133 c7fe45cf4b819c5991fe208aaa96edf142730f1d)"
	.section	".note.GNU-stack","",@progbits
	.addrsig
	.addrsig_sym __hip_cuid_54c22d895f392b46
	.amdgpu_metadata
---
amdhsa.kernels:
  - .agpr_count:     0
    .args:
      - .actual_access:  read_only
        .address_space:  global
        .offset:         0
        .size:           8
        .value_kind:     global_buffer
      - .offset:         8
        .size:           8
        .value_kind:     by_value
      - .actual_access:  read_only
        .address_space:  global
        .offset:         16
        .size:           8
        .value_kind:     global_buffer
      - .actual_access:  read_only
        .address_space:  global
        .offset:         24
        .size:           8
        .value_kind:     global_buffer
      - .offset:         32
        .size:           8
        .value_kind:     by_value
      - .actual_access:  read_only
        .address_space:  global
        .offset:         40
        .size:           8
        .value_kind:     global_buffer
      - .actual_access:  read_only
        .address_space:  global
        .offset:         48
        .size:           8
        .value_kind:     global_buffer
      - .offset:         56
        .size:           4
        .value_kind:     by_value
      - .actual_access:  read_only
        .address_space:  global
        .offset:         64
        .size:           8
        .value_kind:     global_buffer
      - .actual_access:  read_only
        .address_space:  global
        .offset:         72
        .size:           8
        .value_kind:     global_buffer
      - .address_space:  global
        .offset:         80
        .size:           8
        .value_kind:     global_buffer
    .group_segment_fixed_size: 0
    .kernarg_segment_align: 8
    .kernarg_segment_size: 88
    .language:       OpenCL C
    .language_version:
      - 2
      - 0
    .max_flat_workgroup_size: 182
    .name:           fft_rtc_back_len1820_factors_10_13_7_2_wgs_182_tpt_182_halfLds_sp_ip_CI_unitstride_sbrr_dirReg
    .private_segment_fixed_size: 0
    .sgpr_count:     52
    .sgpr_spill_count: 0
    .symbol:         fft_rtc_back_len1820_factors_10_13_7_2_wgs_182_tpt_182_halfLds_sp_ip_CI_unitstride_sbrr_dirReg.kd
    .uniform_work_group_size: 1
    .uses_dynamic_stack: false
    .vgpr_count:     114
    .vgpr_spill_count: 0
    .wavefront_size: 64
amdhsa.target:   amdgcn-amd-amdhsa--gfx950
amdhsa.version:
  - 1
  - 2
...

	.end_amdgpu_metadata
